;; amdgpu-corpus repo=ROCm/rocFFT kind=compiled arch=gfx1030 opt=O3
	.text
	.amdgcn_target "amdgcn-amd-amdhsa--gfx1030"
	.amdhsa_code_object_version 6
	.protected	fft_rtc_fwd_len1155_factors_11_5_7_3_wgs_55_tpt_55_halfLds_dp_op_CI_CI_sbrr_dirReg ; -- Begin function fft_rtc_fwd_len1155_factors_11_5_7_3_wgs_55_tpt_55_halfLds_dp_op_CI_CI_sbrr_dirReg
	.globl	fft_rtc_fwd_len1155_factors_11_5_7_3_wgs_55_tpt_55_halfLds_dp_op_CI_CI_sbrr_dirReg
	.p2align	8
	.type	fft_rtc_fwd_len1155_factors_11_5_7_3_wgs_55_tpt_55_halfLds_dp_op_CI_CI_sbrr_dirReg,@function
fft_rtc_fwd_len1155_factors_11_5_7_3_wgs_55_tpt_55_halfLds_dp_op_CI_CI_sbrr_dirReg: ; @fft_rtc_fwd_len1155_factors_11_5_7_3_wgs_55_tpt_55_halfLds_dp_op_CI_CI_sbrr_dirReg
; %bb.0:
	s_clause 0x2
	s_load_dwordx4 s[16:19], s[4:5], 0x18
	s_load_dwordx4 s[12:15], s[4:5], 0x0
	;; [unrolled: 1-line block ×3, first 2 shown]
	v_mul_u32_u24_e32 v2, 0x4a8, v0
	v_mov_b32_e32 v1, 0
	v_mov_b32_e32 v4, 0
	;; [unrolled: 1-line block ×3, first 2 shown]
	s_waitcnt lgkmcnt(0)
	s_load_dwordx2 s[20:21], s[16:17], 0x0
	s_load_dwordx2 s[2:3], s[18:19], 0x0
	v_cmp_lt_u64_e64 s0, s[14:15], 2
	v_add_nc_u32_sdwa v6, s6, v2 dst_sel:DWORD dst_unused:UNUSED_PAD src0_sel:DWORD src1_sel:WORD_1
	v_mov_b32_e32 v7, v1
	s_and_b32 vcc_lo, exec_lo, s0
	s_cbranch_vccnz .LBB0_8
; %bb.1:
	s_load_dwordx2 s[0:1], s[4:5], 0x10
	v_mov_b32_e32 v4, 0
	v_mov_b32_e32 v5, 0
	s_add_u32 s6, s18, 8
	s_addc_u32 s7, s19, 0
	s_add_u32 s22, s16, 8
	s_addc_u32 s23, s17, 0
	v_mov_b32_e32 v137, v5
	v_mov_b32_e32 v136, v4
	s_mov_b64 s[26:27], 1
	s_waitcnt lgkmcnt(0)
	s_add_u32 s24, s0, 8
	s_addc_u32 s25, s1, 0
.LBB0_2:                                ; =>This Inner Loop Header: Depth=1
	s_load_dwordx2 s[28:29], s[24:25], 0x0
                                        ; implicit-def: $vgpr138_vgpr139
	s_mov_b32 s0, exec_lo
	s_waitcnt lgkmcnt(0)
	v_or_b32_e32 v2, s29, v7
	v_cmpx_ne_u64_e32 0, v[1:2]
	s_xor_b32 s1, exec_lo, s0
	s_cbranch_execz .LBB0_4
; %bb.3:                                ;   in Loop: Header=BB0_2 Depth=1
	v_cvt_f32_u32_e32 v2, s28
	v_cvt_f32_u32_e32 v3, s29
	s_sub_u32 s0, 0, s28
	s_subb_u32 s30, 0, s29
	v_fmac_f32_e32 v2, 0x4f800000, v3
	v_rcp_f32_e32 v2, v2
	v_mul_f32_e32 v2, 0x5f7ffffc, v2
	v_mul_f32_e32 v3, 0x2f800000, v2
	v_trunc_f32_e32 v3, v3
	v_fmac_f32_e32 v2, 0xcf800000, v3
	v_cvt_u32_f32_e32 v3, v3
	v_cvt_u32_f32_e32 v2, v2
	v_mul_lo_u32 v8, s0, v3
	v_mul_hi_u32 v9, s0, v2
	v_mul_lo_u32 v10, s30, v2
	v_add_nc_u32_e32 v8, v9, v8
	v_mul_lo_u32 v9, s0, v2
	v_add_nc_u32_e32 v8, v8, v10
	v_mul_hi_u32 v10, v2, v9
	v_mul_lo_u32 v11, v2, v8
	v_mul_hi_u32 v12, v2, v8
	v_mul_hi_u32 v13, v3, v9
	v_mul_lo_u32 v9, v3, v9
	v_mul_hi_u32 v14, v3, v8
	v_mul_lo_u32 v8, v3, v8
	v_add_co_u32 v10, vcc_lo, v10, v11
	v_add_co_ci_u32_e32 v11, vcc_lo, 0, v12, vcc_lo
	v_add_co_u32 v9, vcc_lo, v10, v9
	v_add_co_ci_u32_e32 v9, vcc_lo, v11, v13, vcc_lo
	v_add_co_ci_u32_e32 v10, vcc_lo, 0, v14, vcc_lo
	v_add_co_u32 v8, vcc_lo, v9, v8
	v_add_co_ci_u32_e32 v9, vcc_lo, 0, v10, vcc_lo
	v_add_co_u32 v2, vcc_lo, v2, v8
	v_add_co_ci_u32_e32 v3, vcc_lo, v3, v9, vcc_lo
	v_mul_hi_u32 v8, s0, v2
	v_mul_lo_u32 v10, s30, v2
	v_mul_lo_u32 v9, s0, v3
	v_add_nc_u32_e32 v8, v8, v9
	v_mul_lo_u32 v9, s0, v2
	v_add_nc_u32_e32 v8, v8, v10
	v_mul_hi_u32 v10, v2, v9
	v_mul_lo_u32 v11, v2, v8
	v_mul_hi_u32 v12, v2, v8
	v_mul_hi_u32 v13, v3, v9
	v_mul_lo_u32 v9, v3, v9
	v_mul_hi_u32 v14, v3, v8
	v_mul_lo_u32 v8, v3, v8
	v_add_co_u32 v10, vcc_lo, v10, v11
	v_add_co_ci_u32_e32 v11, vcc_lo, 0, v12, vcc_lo
	v_add_co_u32 v9, vcc_lo, v10, v9
	v_add_co_ci_u32_e32 v9, vcc_lo, v11, v13, vcc_lo
	v_add_co_ci_u32_e32 v10, vcc_lo, 0, v14, vcc_lo
	v_add_co_u32 v8, vcc_lo, v9, v8
	v_add_co_ci_u32_e32 v9, vcc_lo, 0, v10, vcc_lo
	v_add_co_u32 v8, vcc_lo, v2, v8
	v_add_co_ci_u32_e32 v10, vcc_lo, v3, v9, vcc_lo
	v_mul_hi_u32 v12, v6, v8
	v_mad_u64_u32 v[8:9], null, v7, v8, 0
	v_mad_u64_u32 v[2:3], null, v6, v10, 0
	v_mad_u64_u32 v[10:11], null, v7, v10, 0
	v_add_co_u32 v2, vcc_lo, v12, v2
	v_add_co_ci_u32_e32 v3, vcc_lo, 0, v3, vcc_lo
	v_add_co_u32 v2, vcc_lo, v2, v8
	v_add_co_ci_u32_e32 v2, vcc_lo, v3, v9, vcc_lo
	v_add_co_ci_u32_e32 v3, vcc_lo, 0, v11, vcc_lo
	v_add_co_u32 v8, vcc_lo, v2, v10
	v_add_co_ci_u32_e32 v9, vcc_lo, 0, v3, vcc_lo
	v_mul_lo_u32 v10, s29, v8
	v_mad_u64_u32 v[2:3], null, s28, v8, 0
	v_mul_lo_u32 v11, s28, v9
	v_sub_co_u32 v2, vcc_lo, v6, v2
	v_add3_u32 v3, v3, v11, v10
	v_sub_nc_u32_e32 v10, v7, v3
	v_subrev_co_ci_u32_e64 v10, s0, s29, v10, vcc_lo
	v_add_co_u32 v11, s0, v8, 2
	v_add_co_ci_u32_e64 v12, s0, 0, v9, s0
	v_sub_co_u32 v13, s0, v2, s28
	v_sub_co_ci_u32_e32 v3, vcc_lo, v7, v3, vcc_lo
	v_subrev_co_ci_u32_e64 v10, s0, 0, v10, s0
	v_cmp_le_u32_e32 vcc_lo, s28, v13
	v_cmp_eq_u32_e64 s0, s29, v3
	v_cndmask_b32_e64 v13, 0, -1, vcc_lo
	v_cmp_le_u32_e32 vcc_lo, s29, v10
	v_cndmask_b32_e64 v14, 0, -1, vcc_lo
	v_cmp_le_u32_e32 vcc_lo, s28, v2
	;; [unrolled: 2-line block ×3, first 2 shown]
	v_cndmask_b32_e64 v15, 0, -1, vcc_lo
	v_cmp_eq_u32_e32 vcc_lo, s29, v10
	v_cndmask_b32_e64 v2, v15, v2, s0
	v_cndmask_b32_e32 v10, v14, v13, vcc_lo
	v_add_co_u32 v13, vcc_lo, v8, 1
	v_add_co_ci_u32_e32 v14, vcc_lo, 0, v9, vcc_lo
	v_cmp_ne_u32_e32 vcc_lo, 0, v10
	v_cndmask_b32_e32 v3, v14, v12, vcc_lo
	v_cndmask_b32_e32 v10, v13, v11, vcc_lo
	v_cmp_ne_u32_e32 vcc_lo, 0, v2
	v_cndmask_b32_e32 v139, v9, v3, vcc_lo
	v_cndmask_b32_e32 v138, v8, v10, vcc_lo
.LBB0_4:                                ;   in Loop: Header=BB0_2 Depth=1
	s_andn2_saveexec_b32 s0, s1
	s_cbranch_execz .LBB0_6
; %bb.5:                                ;   in Loop: Header=BB0_2 Depth=1
	v_cvt_f32_u32_e32 v2, s28
	s_sub_i32 s1, 0, s28
	v_mov_b32_e32 v139, v1
	v_rcp_iflag_f32_e32 v2, v2
	v_mul_f32_e32 v2, 0x4f7ffffe, v2
	v_cvt_u32_f32_e32 v2, v2
	v_mul_lo_u32 v3, s1, v2
	v_mul_hi_u32 v3, v2, v3
	v_add_nc_u32_e32 v2, v2, v3
	v_mul_hi_u32 v2, v6, v2
	v_mul_lo_u32 v3, v2, s28
	v_add_nc_u32_e32 v8, 1, v2
	v_sub_nc_u32_e32 v3, v6, v3
	v_subrev_nc_u32_e32 v9, s28, v3
	v_cmp_le_u32_e32 vcc_lo, s28, v3
	v_cndmask_b32_e32 v3, v3, v9, vcc_lo
	v_cndmask_b32_e32 v2, v2, v8, vcc_lo
	v_cmp_le_u32_e32 vcc_lo, s28, v3
	v_add_nc_u32_e32 v8, 1, v2
	v_cndmask_b32_e32 v138, v2, v8, vcc_lo
.LBB0_6:                                ;   in Loop: Header=BB0_2 Depth=1
	s_or_b32 exec_lo, exec_lo, s0
	v_mul_lo_u32 v8, v139, s28
	v_mul_lo_u32 v9, v138, s29
	s_load_dwordx2 s[0:1], s[22:23], 0x0
	v_mad_u64_u32 v[2:3], null, v138, s28, 0
	s_load_dwordx2 s[28:29], s[6:7], 0x0
	s_add_u32 s26, s26, 1
	s_addc_u32 s27, s27, 0
	s_add_u32 s6, s6, 8
	s_addc_u32 s7, s7, 0
	s_add_u32 s22, s22, 8
	v_add3_u32 v3, v3, v9, v8
	v_sub_co_u32 v2, vcc_lo, v6, v2
	s_addc_u32 s23, s23, 0
	s_add_u32 s24, s24, 8
	v_sub_co_ci_u32_e32 v3, vcc_lo, v7, v3, vcc_lo
	s_addc_u32 s25, s25, 0
	s_waitcnt lgkmcnt(0)
	v_mul_lo_u32 v6, s0, v3
	v_mul_lo_u32 v7, s1, v2
	v_mad_u64_u32 v[4:5], null, s0, v2, v[4:5]
	v_mul_lo_u32 v3, s28, v3
	v_mul_lo_u32 v8, s29, v2
	v_mad_u64_u32 v[136:137], null, s28, v2, v[136:137]
	v_cmp_ge_u64_e64 s0, s[26:27], s[14:15]
	v_add3_u32 v5, v7, v5, v6
	v_add3_u32 v137, v8, v137, v3
	s_and_b32 vcc_lo, exec_lo, s0
	s_cbranch_vccnz .LBB0_9
; %bb.7:                                ;   in Loop: Header=BB0_2 Depth=1
	v_mov_b32_e32 v6, v138
	v_mov_b32_e32 v7, v139
	s_branch .LBB0_2
.LBB0_8:
	v_mov_b32_e32 v137, v5
	v_mov_b32_e32 v139, v7
	;; [unrolled: 1-line block ×4, first 2 shown]
.LBB0_9:
	s_load_dwordx2 s[0:1], s[4:5], 0x28
	v_mul_hi_u32 v1, 0x4a7904b, v0
	s_lshl_b64 s[6:7], s[14:15], 3
                                        ; implicit-def: $vgpr142
	s_add_u32 s4, s18, s6
	s_addc_u32 s5, s19, s7
	s_waitcnt lgkmcnt(0)
	v_cmp_gt_u64_e32 vcc_lo, s[0:1], v[138:139]
	v_cmp_le_u64_e64 s0, s[0:1], v[138:139]
	s_and_saveexec_b32 s1, s0
	s_xor_b32 s0, exec_lo, s1
; %bb.10:
	v_mul_u32_u24_e32 v1, 55, v1
                                        ; implicit-def: $vgpr4_vgpr5
	v_sub_nc_u32_e32 v142, v0, v1
                                        ; implicit-def: $vgpr1
                                        ; implicit-def: $vgpr0
; %bb.11:
	s_or_saveexec_b32 s1, s0
	s_load_dwordx2 s[4:5], s[4:5], 0x0
                                        ; implicit-def: $vgpr18_vgpr19
                                        ; implicit-def: $vgpr26_vgpr27
                                        ; implicit-def: $vgpr34_vgpr35
                                        ; implicit-def: $vgpr58_vgpr59
                                        ; implicit-def: $vgpr66_vgpr67
                                        ; implicit-def: $vgpr70_vgpr71
                                        ; implicit-def: $vgpr78_vgpr79
                                        ; implicit-def: $vgpr54_vgpr55
                                        ; implicit-def: $vgpr50_vgpr51
                                        ; implicit-def: $vgpr38_vgpr39
                                        ; implicit-def: $vgpr6_vgpr7
                                        ; implicit-def: $vgpr10_vgpr11
                                        ; implicit-def: $vgpr14_vgpr15
                                        ; implicit-def: $vgpr22_vgpr23
                                        ; implicit-def: $vgpr30_vgpr31
                                        ; implicit-def: $vgpr46_vgpr47
                                        ; implicit-def: $vgpr42_vgpr43
                                        ; implicit-def: $vgpr74_vgpr75
                                        ; implicit-def: $vgpr62_vgpr63
                                        ; implicit-def: $vgpr86_vgpr87
                                        ; implicit-def: $vgpr90_vgpr91
                                        ; implicit-def: $vgpr2_vgpr3
	s_xor_b32 exec_lo, exec_lo, s1
	s_cbranch_execz .LBB0_15
; %bb.12:
	s_add_u32 s6, s16, s6
	s_addc_u32 s7, s17, s7
	v_mul_u32_u24_e32 v1, 55, v1
	s_load_dwordx2 s[6:7], s[6:7], 0x0
	v_lshlrev_b64 v[4:5], 4, v[4:5]
                                        ; implicit-def: $vgpr36_vgpr37
                                        ; implicit-def: $vgpr48_vgpr49
                                        ; implicit-def: $vgpr52_vgpr53
                                        ; implicit-def: $vgpr76_vgpr77
                                        ; implicit-def: $vgpr68_vgpr69
                                        ; implicit-def: $vgpr64_vgpr65
                                        ; implicit-def: $vgpr56_vgpr57
                                        ; implicit-def: $vgpr32_vgpr33
	v_sub_nc_u32_e32 v142, v0, v1
	v_add_nc_u32_e32 v15, 0x69, v142
	v_mad_u64_u32 v[0:1], null, s20, v142, 0
	v_add_nc_u32_e32 v17, 0xd2, v142
	v_add_nc_u32_e32 v20, 0x13b, v142
	v_mad_u64_u32 v[2:3], null, s20, v15, 0
	v_add_nc_u32_e32 v21, 0x1a4, v142
	v_mad_u64_u32 v[6:7], null, s20, v17, 0
	v_mad_u64_u32 v[10:11], null, s20, v20, 0
	s_waitcnt lgkmcnt(0)
	v_mul_lo_u32 v16, s7, v138
	v_mul_lo_u32 v18, s6, v139
	v_mad_u64_u32 v[8:9], null, s6, v138, 0
	v_mad_u64_u32 v[12:13], null, s21, v142, v[1:2]
	v_mad_u64_u32 v[13:14], null, s20, v21, 0
	v_add_nc_u32_e32 v22, 0x2df, v142
	v_add_nc_u32_e32 v23, 0x348, v142
	v_add3_u32 v9, v9, v18, v16
	v_mad_u64_u32 v[15:16], null, s21, v15, v[3:4]
	v_mov_b32_e32 v1, v12
	v_add_nc_u32_e32 v12, 0x20d, v142
	v_lshlrev_b64 v[8:9], 4, v[8:9]
	v_add_nc_u32_e32 v24, 0x3b1, v142
	v_add_nc_u32_e32 v25, 0x41a, v142
	v_lshlrev_b64 v[0:1], 4, v[0:1]
	v_mov_b32_e32 v3, v15
	s_mov_b32 s6, exec_lo
	v_mad_u64_u32 v[16:17], null, s21, v17, v[7:8]
	v_add_co_u32 v7, s0, s8, v8
	v_add_co_ci_u32_e64 v8, s0, s9, v9, s0
	v_lshlrev_b64 v[2:3], 4, v[2:3]
	v_add_co_u32 v18, s0, v7, v4
	v_add_co_ci_u32_e64 v19, s0, v8, v5, s0
	v_mad_u64_u32 v[8:9], null, s21, v20, v[11:12]
	v_add_co_u32 v0, s0, v18, v0
	v_add_co_ci_u32_e64 v1, s0, v19, v1, s0
	v_add_co_u32 v4, s0, v18, v2
	v_mov_b32_e32 v7, v16
	v_mad_u64_u32 v[15:16], null, s20, v12, 0
	v_mov_b32_e32 v9, v14
	v_add_co_ci_u32_e64 v5, s0, v19, v3, s0
	v_mov_b32_e32 v11, v8
	s_clause 0x1
	global_load_dwordx4 v[0:3], v[0:1], off
	global_load_dwordx4 v[88:91], v[4:5], off
	v_lshlrev_b64 v[4:5], 4, v[6:7]
	v_mad_u64_u32 v[6:7], null, s21, v21, v[9:10]
	v_lshlrev_b64 v[8:9], 4, v[10:11]
	v_mov_b32_e32 v7, v16
	v_add_nc_u32_e32 v17, 0x276, v142
	v_add_co_u32 v4, s0, v18, v4
	v_add_co_ci_u32_e64 v5, s0, v19, v5, s0
	v_mov_b32_e32 v14, v6
	v_mad_u64_u32 v[6:7], null, s21, v12, v[7:8]
	v_mad_u64_u32 v[11:12], null, s20, v17, 0
	v_add_co_u32 v7, s0, v18, v8
	v_add_co_ci_u32_e64 v8, s0, v19, v9, s0
	v_mov_b32_e32 v16, v6
	v_lshlrev_b64 v[9:10], 4, v[13:14]
	s_clause 0x1
	global_load_dwordx4 v[84:87], v[4:5], off
	global_load_dwordx4 v[60:63], v[7:8], off
	v_mov_b32_e32 v6, v12
	v_mad_u64_u32 v[13:14], null, s20, v22, 0
	v_lshlrev_b64 v[7:8], 4, v[15:16]
	v_add_co_u32 v4, s0, v18, v9
	v_add_co_ci_u32_e64 v5, s0, v19, v10, s0
	v_mad_u64_u32 v[15:16], null, s20, v23, 0
	v_mad_u64_u32 v[9:10], null, s21, v17, v[6:7]
	v_add_co_u32 v6, s0, v18, v7
	v_add_co_ci_u32_e64 v7, s0, v19, v8, s0
	v_mov_b32_e32 v8, v14
	v_mad_u64_u32 v[20:21], null, s20, v24, 0
	v_mov_b32_e32 v12, v9
	v_mov_b32_e32 v9, v16
	s_clause 0x1
	global_load_dwordx4 v[72:75], v[4:5], off
	global_load_dwordx4 v[40:43], v[6:7], off
	v_lshlrev_b64 v[5:6], 4, v[11:12]
	v_mad_u64_u32 v[16:17], null, s21, v22, v[8:9]
	v_mad_u64_u32 v[8:9], null, s21, v23, v[9:10]
	;; [unrolled: 1-line block ×3, first 2 shown]
	v_mov_b32_e32 v4, v21
	v_mov_b32_e32 v14, v16
	;; [unrolled: 1-line block ×3, first 2 shown]
	v_mad_u64_u32 v[7:8], null, s21, v24, v[4:5]
	v_mov_b32_e32 v4, v10
	v_add_co_u32 v5, s0, v18, v5
	v_lshlrev_b64 v[10:11], 4, v[13:14]
	v_add_co_ci_u32_e64 v6, s0, v19, v6, s0
	v_mad_u64_u32 v[12:13], null, s21, v25, v[4:5]
	v_mov_b32_e32 v21, v7
	v_lshlrev_b64 v[13:14], 4, v[15:16]
	v_add_co_u32 v7, s0, v18, v10
	v_add_co_ci_u32_e64 v8, s0, v19, v11, s0
	v_mov_b32_e32 v10, v12
	v_lshlrev_b64 v[15:16], 4, v[20:21]
	v_add_co_u32 v11, s0, v18, v13
	v_add_co_ci_u32_e64 v12, s0, v19, v14, s0
	v_lshlrev_b64 v[9:10], 4, v[9:10]
	v_add_co_u32 v13, s0, v18, v15
	v_add_co_ci_u32_e64 v14, s0, v19, v16, s0
                                        ; implicit-def: $vgpr24_vgpr25
                                        ; implicit-def: $vgpr16_vgpr17
	v_add_co_u32 v9, s0, v18, v9
	v_add_co_ci_u32_e64 v10, s0, v19, v10, s0
	s_clause 0x4
	global_load_dwordx4 v[44:47], v[5:6], off
	global_load_dwordx4 v[28:31], v[7:8], off
	;; [unrolled: 1-line block ×5, first 2 shown]
                                        ; implicit-def: $vgpr4_vgpr5
	v_cmpx_gt_u32_e32 50, v142
	s_cbranch_execz .LBB0_14
; %bb.13:
	v_add_nc_u32_e32 v16, 55, v142
	v_add_nc_u32_e32 v26, 0xa0, v142
	;; [unrolled: 1-line block ×5, first 2 shown]
	v_mad_u64_u32 v[4:5], null, s20, v16, 0
	v_mad_u64_u32 v[6:7], null, s20, v26, 0
	;; [unrolled: 1-line block ×4, first 2 shown]
	v_add_nc_u32_e32 v48, 0x1db, v142
	v_mad_u64_u32 v[56:57], null, s20, v49, 0
	v_mad_u64_u32 v[16:17], null, s21, v16, v[5:6]
	s_waitcnt vmcnt(0)
	v_mad_u64_u32 v[26:27], null, s21, v26, v[7:8]
	v_add_nc_u32_e32 v64, 0x316, v142
	v_add_nc_u32_e32 v66, 0x37f, v142
	;; [unrolled: 1-line block ×4, first 2 shown]
	v_mov_b32_e32 v5, v16
	v_mad_u64_u32 v[16:17], null, s20, v48, 0
	v_mov_b32_e32 v7, v26
	v_mov_b32_e32 v26, v33
	v_lshlrev_b64 v[4:5], 4, v[4:5]
	v_mad_u64_u32 v[58:59], null, s20, v66, 0
	v_lshlrev_b64 v[6:7], 4, v[6:7]
	v_mad_u64_u32 v[33:34], null, s21, v34, v[25:26]
	v_mad_u64_u32 v[26:27], null, s21, v36, v[26:27]
	v_add_co_u32 v4, s0, v18, v4
	v_add_co_ci_u32_e64 v5, s0, v19, v5, s0
	v_add_co_u32 v34, s0, v18, v6
	v_mov_b32_e32 v25, v33
	v_add_co_ci_u32_e64 v35, s0, v19, v7, s0
	v_mov_b32_e32 v33, v26
	v_mov_b32_e32 v26, v57
	s_clause 0x1
	global_load_dwordx4 v[4:7], v[4:5], off
	global_load_dwordx4 v[36:39], v[34:35], off
	v_lshlrev_b64 v[24:25], 4, v[24:25]
	v_mad_u64_u32 v[34:35], null, s21, v48, v[17:18]
	v_mad_u64_u32 v[26:27], null, s21, v49, v[26:27]
	v_lshlrev_b64 v[32:33], 4, v[32:33]
	v_add_nc_u32_e32 v27, 0x2ad, v142
	v_add_co_u32 v24, s0, v18, v24
	v_add_co_ci_u32_e64 v25, s0, v19, v25, s0
	v_mov_b32_e32 v17, v34
	v_mad_u64_u32 v[34:35], null, s20, v27, 0
	v_add_co_u32 v32, s0, v18, v32
	v_mov_b32_e32 v57, v26
	v_add_co_ci_u32_e64 v33, s0, v19, v33, s0
	s_clause 0x1
	global_load_dwordx4 v[48:51], v[24:25], off
	global_load_dwordx4 v[52:55], v[32:33], off
	v_lshlrev_b64 v[25:26], 4, v[56:57]
	v_mov_b32_e32 v24, v35
	v_lshlrev_b64 v[16:17], 4, v[16:17]
	v_mad_u64_u32 v[56:57], null, s20, v64, 0
	v_mad_u64_u32 v[32:33], null, s21, v27, v[24:25]
	v_add_co_u32 v16, s0, v18, v16
	v_add_co_ci_u32_e64 v17, s0, v19, v17, s0
	v_add_co_u32 v24, s0, v18, v25
	v_add_co_ci_u32_e64 v25, s0, v19, v26, s0
	v_mov_b32_e32 v35, v32
	v_mov_b32_e32 v26, v57
	;; [unrolled: 1-line block ×3, first 2 shown]
	v_mad_u64_u32 v[32:33], null, s20, v67, 0
	s_clause 0x1
	global_load_dwordx4 v[76:79], v[16:17], off
	global_load_dwordx4 v[68:71], v[24:25], off
	v_lshlrev_b64 v[24:25], 4, v[34:35]
	v_mad_u64_u32 v[64:65], null, s21, v64, v[26:27]
	v_mad_u64_u32 v[26:27], null, s21, v66, v[27:28]
	;; [unrolled: 1-line block ×3, first 2 shown]
	v_mov_b32_e32 v16, v33
	v_add_co_u32 v24, s0, v18, v24
	v_mov_b32_e32 v57, v64
	v_mov_b32_e32 v59, v26
	v_mad_u64_u32 v[16:17], null, s21, v67, v[16:17]
	v_mov_b32_e32 v17, v66
	v_lshlrev_b64 v[26:27], 4, v[56:57]
	v_add_co_ci_u32_e64 v25, s0, v19, v25, s0
	v_lshlrev_b64 v[56:57], 4, v[58:59]
	v_mad_u64_u32 v[34:35], null, s21, v80, v[17:18]
	v_mov_b32_e32 v33, v16
	v_add_co_u32 v16, s0, v18, v26
	v_add_co_ci_u32_e64 v17, s0, v19, v27, s0
	v_lshlrev_b64 v[26:27], 4, v[32:33]
	v_mov_b32_e32 v66, v34
	v_add_co_u32 v32, s0, v18, v56
	v_add_co_ci_u32_e64 v33, s0, v19, v57, s0
	v_lshlrev_b64 v[34:35], 4, v[65:66]
	v_add_co_u32 v26, s0, v18, v26
	v_add_co_ci_u32_e64 v27, s0, v19, v27, s0
	v_add_co_u32 v18, s0, v18, v34
	v_add_co_ci_u32_e64 v19, s0, v19, v35, s0
	s_clause 0x4
	global_load_dwordx4 v[64:67], v[24:25], off
	global_load_dwordx4 v[56:59], v[16:17], off
	;; [unrolled: 1-line block ×5, first 2 shown]
.LBB0_14:
	s_or_b32 exec_lo, exec_lo, s6
.LBB0_15:
	s_or_b32 exec_lo, exec_lo, s1
	s_waitcnt vmcnt(0)
	v_add_f64 v[80:81], v[8:9], v[88:89]
	v_add_f64 v[92:93], v[88:89], v[0:1]
	s_mov_b32 s6, 0xd9c712b6
	s_mov_b32 s16, 0x640f44db
	;; [unrolled: 1-line block ×4, first 2 shown]
	v_add_f64 v[82:83], v[90:91], -v[10:11]
	v_add_f64 v[106:107], v[12:13], v[84:85]
	s_mov_b32 s8, 0x8eee2c13
	s_mov_b32 s14, 0x7f775887
	;; [unrolled: 1-line block ×8, first 2 shown]
	v_add_f64 v[118:119], v[86:87], -v[14:15]
	v_add_f64 v[110:111], v[20:21], v[60:61]
	v_add_f64 v[98:99], v[16:17], v[36:37]
	s_mov_b32 s0, 0xbb3a28a1
	s_mov_b32 s36, 0xfd768dbf
	;; [unrolled: 1-line block ×3, first 2 shown]
	v_mul_f64 v[108:109], v[80:81], s[6:7]
	v_mul_f64 v[120:121], v[80:81], s[16:17]
	v_add_f64 v[112:113], v[84:85], v[92:93]
	v_mul_f64 v[114:115], v[80:81], s[14:15]
	v_mul_f64 v[140:141], v[80:81], s[18:19]
	s_mov_b32 s1, 0x3fe82f19
	s_mov_b32 s37, 0x3fd207e7
	v_mul_f64 v[126:127], v[106:107], s[14:15]
	v_mul_f64 v[134:135], v[106:107], s[18:19]
	s_mov_b32 s23, 0xbfd207e7
	s_mov_b32 s21, 0x3feaeb8c
	;; [unrolled: 1-line block ×3, first 2 shown]
	v_add_f64 v[122:123], v[62:63], -v[22:23]
	v_add_f64 v[124:125], v[28:29], v[72:73]
	v_add_f64 v[104:105], v[38:39], -v[18:19]
	v_add_f64 v[96:97], v[24:25], v[48:49]
	v_mul_f64 v[151:152], v[106:107], s[16:17]
	v_mul_f64 v[145:146], v[110:111], s[18:19]
	;; [unrolled: 1-line block ×5, first 2 shown]
	s_mov_b32 s26, 0xf8bb580b
	v_fma_f64 v[116:117], v[82:83], s[8:9], v[108:109]
	v_fma_f64 v[143:144], v[82:83], s[30:31], v[120:121]
	v_add_f64 v[147:148], v[60:61], v[112:113]
	v_fma_f64 v[159:160], v[82:83], s[0:1], v[114:115]
	v_fma_f64 v[161:162], v[82:83], s[36:37], v[140:141]
	v_mul_f64 v[112:113], v[98:99], s[20:21]
	s_mov_b32 s39, 0xbfed1bb4
	v_fma_f64 v[155:156], v[118:119], s[0:1], v[126:127]
	v_fma_f64 v[157:158], v[118:119], s[22:23], v[134:135]
	s_mov_b32 s25, 0xbfefac9e
	s_mov_b32 s27, 0x3fe14ced
	;; [unrolled: 1-line block ×8, first 2 shown]
	v_add_f64 v[128:129], v[74:75], -v[30:31]
	v_add_f64 v[102:103], v[50:51], -v[26:27]
	v_add_f64 v[94:95], v[32:33], v[52:53]
	v_mul_f64 v[165:166], v[124:125], s[16:17]
	v_mul_f64 v[173:174], v[110:111], s[20:21]
	v_add_f64 v[163:164], v[0:1], v[116:117]
	v_add_f64 v[143:144], v[0:1], v[143:144]
	v_mul_f64 v[116:117], v[98:99], s[6:7]
	v_add_f64 v[147:148], v[72:73], v[147:148]
	v_mul_f64 v[175:176], v[110:111], s[14:15]
	v_mul_f64 v[179:180], v[106:107], s[6:7]
	;; [unrolled: 1-line block ×3, first 2 shown]
	v_fma_f64 v[183:184], v[122:123], s[22:23], v[145:146]
	v_fma_f64 v[185:186], v[122:123], s[38:39], v[149:150]
	;; [unrolled: 1-line block ×4, first 2 shown]
	v_add_f64 v[159:160], v[0:1], v[159:160]
	v_add_f64 v[161:162], v[0:1], v[161:162]
	v_mul_f64 v[110:111], v[96:97], s[6:7]
	v_fma_f64 v[140:141], v[82:83], s[22:23], v[140:141]
	v_fma_f64 v[120:121], v[82:83], s[24:25], v[120:121]
	v_fma_f64 v[193:194], v[82:83], s[26:27], v[80:81]
	v_fma_f64 v[80:81], v[82:83], s[34:35], v[80:81]
	v_add_f64 v[100:101], v[54:55], -v[34:35]
	v_add_f64 v[92:93], v[56:57], v[76:77]
	v_mul_f64 v[167:168], v[124:125], s[20:21]
	v_mul_f64 v[106:107], v[94:95], s[16:17]
	v_add_f64 v[155:156], v[155:156], v[163:164]
	v_add_f64 v[143:144], v[157:158], v[143:144]
	v_fma_f64 v[157:158], v[82:83], s[28:29], v[114:115]
	v_mul_f64 v[114:115], v[96:97], s[14:15]
	v_fma_f64 v[163:164], v[82:83], s[38:39], v[108:109]
	v_fma_f64 v[82:83], v[104:105], s[34:35], v[112:113]
	;; [unrolled: 1-line block ×3, first 2 shown]
	v_add_f64 v[147:148], v[40:41], v[147:148]
	v_mul_f64 v[108:109], v[94:95], s[18:19]
	v_fma_f64 v[191:192], v[128:129], s[24:25], v[165:166]
	v_fma_f64 v[151:152], v[118:119], s[30:31], v[151:152]
	v_add_f64 v[159:160], v[187:188], v[159:160]
	v_add_f64 v[161:162], v[189:190], v[161:162]
	v_fma_f64 v[153:154], v[118:119], s[26:27], v[153:154]
	v_add_f64 v[140:141], v[0:1], v[140:141]
	v_fma_f64 v[126:127], v[118:119], s[28:29], v[126:127]
	v_fma_f64 v[134:135], v[118:119], s[36:37], v[134:135]
	v_add_f64 v[120:121], v[0:1], v[120:121]
	v_add_f64 v[187:188], v[0:1], v[193:194]
	;; [unrolled: 1-line block ×3, first 2 shown]
	v_mul_f64 v[177:178], v[124:125], s[18:19]
	v_fma_f64 v[195:196], v[128:129], s[26:27], v[167:168]
	v_add_f64 v[155:156], v[183:184], v[155:156]
	v_add_f64 v[143:144], v[185:186], v[143:144]
	;; [unrolled: 1-line block ×3, first 2 shown]
	v_fma_f64 v[185:186], v[118:119], s[8:9], v[179:180]
	v_add_f64 v[163:164], v[0:1], v[163:164]
	v_fma_f64 v[118:119], v[118:119], s[38:39], v[179:180]
	v_fma_f64 v[179:180], v[102:103], s[38:39], v[110:111]
	;; [unrolled: 1-line block ×3, first 2 shown]
	v_add_f64 v[0:1], v[0:1], v[80:81]
	v_add_f64 v[80:81], v[4:5], v[82:83]
	;; [unrolled: 1-line block ×4, first 2 shown]
	v_fma_f64 v[197:198], v[122:123], s[26:27], v[173:174]
	v_fma_f64 v[199:200], v[122:123], s[0:1], v[175:176]
	v_add_f64 v[140:141], v[153:154], v[140:141]
	v_fma_f64 v[153:154], v[122:123], s[34:35], v[173:174]
	v_fma_f64 v[145:146], v[122:123], s[36:37], v[145:146]
	v_add_f64 v[134:135], v[134:135], v[120:121]
	v_fma_f64 v[149:150], v[122:123], s[8:9], v[149:150]
	v_mul_f64 v[120:121], v[92:93], s[16:17]
	v_add_f64 v[132:133], v[42:43], -v[46:47]
	v_mul_f64 v[169:170], v[130:131], s[20:21]
	v_add_f64 v[155:156], v[191:192], v[155:156]
	v_mul_f64 v[191:192], v[124:125], s[6:7]
	v_add_f64 v[151:152], v[151:152], v[157:158]
	v_fma_f64 v[157:158], v[122:123], s[28:29], v[175:176]
	v_add_f64 v[163:164], v[126:127], v[163:164]
	v_add_f64 v[173:174], v[185:186], v[187:188]
	v_fma_f64 v[175:176], v[122:123], s[30:31], v[181:182]
	v_mul_f64 v[124:125], v[124:125], s[14:15]
	v_fma_f64 v[122:123], v[122:123], s[24:25], v[181:182]
	v_add_f64 v[181:182], v[118:119], v[0:1]
	v_add_f64 v[80:81], v[179:180], v[80:81]
	;; [unrolled: 1-line block ×3, first 2 shown]
	v_fma_f64 v[179:180], v[100:101], s[24:25], v[106:107]
	v_fma_f64 v[185:186], v[100:101], s[36:37], v[108:109]
	v_add_f64 v[126:127], v[78:79], -v[58:59]
	v_mul_f64 v[118:119], v[92:93], s[14:15]
	v_add_f64 v[0:1], v[64:65], v[68:69]
	v_add_f64 v[147:148], v[28:29], v[147:148]
	v_mul_f64 v[171:172], v[130:131], s[14:15]
	v_fma_f64 v[193:194], v[128:129], s[36:37], v[177:178]
	v_add_f64 v[143:144], v[195:196], v[143:144]
	v_mul_f64 v[189:190], v[130:131], s[6:7]
	v_mul_f64 v[195:196], v[130:131], s[16:17]
	v_fma_f64 v[187:188], v[128:129], s[38:39], v[191:192]
	v_add_f64 v[151:152], v[153:154], v[151:152]
	v_add_f64 v[140:141], v[157:158], v[140:141]
	v_fma_f64 v[153:154], v[128:129], s[22:23], v[177:178]
	v_fma_f64 v[157:158], v[128:129], s[8:9], v[191:192]
	v_add_f64 v[145:146], v[145:146], v[163:164]
	v_add_f64 v[134:135], v[149:150], v[134:135]
	v_fma_f64 v[149:150], v[128:129], s[30:31], v[165:166]
	v_fma_f64 v[163:164], v[128:129], s[34:35], v[167:168]
	v_add_f64 v[165:166], v[175:176], v[173:174]
	v_fma_f64 v[167:168], v[128:129], s[0:1], v[124:125]
	v_fma_f64 v[173:174], v[128:129], s[28:29], v[124:125]
	v_add_f64 v[175:176], v[122:123], v[181:182]
	v_add_f64 v[80:81], v[179:180], v[80:81]
	;; [unrolled: 1-line block ×3, first 2 shown]
	v_fma_f64 v[177:178], v[126:127], s[28:29], v[118:119]
	v_fma_f64 v[179:180], v[126:127], s[30:31], v[120:121]
	v_add_f64 v[128:129], v[70:71], -v[66:67]
	v_mul_f64 v[122:123], v[0:1], s[20:21]
	v_mul_f64 v[124:125], v[0:1], s[18:19]
	v_add_f64 v[159:160], v[197:198], v[159:160]
	v_add_f64 v[161:162], v[199:200], v[161:162]
	v_mul_f64 v[130:131], v[130:131], s[18:19]
	v_add_f64 v[147:148], v[20:21], v[147:148]
	v_fma_f64 v[183:184], v[132:133], s[34:35], v[169:170]
	v_fma_f64 v[181:182], v[132:133], s[0:1], v[171:172]
	v_add_f64 v[151:152], v[153:154], v[151:152]
	v_add_f64 v[140:141], v[157:158], v[140:141]
	v_fma_f64 v[153:154], v[132:133], s[8:9], v[189:190]
	v_fma_f64 v[157:158], v[132:133], s[24:25], v[195:196]
	v_add_f64 v[145:146], v[149:150], v[145:146]
	v_add_f64 v[134:135], v[163:164], v[134:135]
	v_fma_f64 v[149:150], v[132:133], s[26:27], v[169:170]
	v_fma_f64 v[163:164], v[132:133], s[28:29], v[171:172]
	;; [unrolled: 1-line block ×3, first 2 shown]
	v_add_f64 v[165:166], v[167:168], v[165:166]
	v_cmp_gt_u32_e64 s1, 50, v142
	v_add_f64 v[169:170], v[177:178], v[80:81]
	v_add_f64 v[80:81], v[179:180], v[82:83]
	v_fma_f64 v[82:83], v[128:129], s[26:27], v[122:123]
	v_fma_f64 v[171:172], v[128:129], s[22:23], v[124:125]
	v_add_f64 v[159:160], v[193:194], v[159:160]
	v_add_f64 v[161:162], v[187:188], v[161:162]
	v_fma_f64 v[187:188], v[132:133], s[30:31], v[195:196]
	v_fma_f64 v[167:168], v[132:133], s[36:37], v[130:131]
	v_add_f64 v[147:148], v[12:13], v[147:148]
	v_fma_f64 v[130:131], v[132:133], s[22:23], v[130:131]
	v_add_f64 v[132:133], v[173:174], v[175:176]
	v_add_f64 v[155:156], v[183:184], v[155:156]
	;; [unrolled: 1-line block ×7, first 2 shown]
	v_mad_u32_u24 v145, 0x58, v142, 0
	v_add_f64 v[80:81], v[82:83], v[80:81]
	v_add_f64 v[82:83], v[171:172], v[169:170]
	;; [unrolled: 1-line block ×6, first 2 shown]
	ds_write2_b64 v145, v[155:156], v[143:144] offset0:2 offset1:3
	ds_write2_b64 v145, v[159:160], v[161:162] offset0:4 offset1:5
	v_add_f64 v[130:131], v[130:131], v[132:133]
	ds_write2_b64 v145, v[140:141], v[151:152] offset0:6 offset1:7
	ds_write2_b64 v145, v[134:135], v[149:150] offset0:8 offset1:9
	ds_write2_b64 v145, v[146:147], v[153:154] offset1:1
	ds_write_b64 v145, v[130:131] offset:80
	s_and_saveexec_b32 s0, s1
	s_cbranch_execz .LBB0_17
; %bb.16:
	v_add_f64 v[130:131], v[36:37], v[4:5]
	v_mul_f64 v[140:141], v[104:105], s[24:25]
	v_mul_f64 v[143:144], v[104:105], s[38:39]
	;; [unrolled: 1-line block ×11, first 2 shown]
	v_add_f64 v[130:131], v[48:49], v[130:131]
	v_fma_f64 v[158:159], v[98:99], s[16:17], -v[140:141]
	v_add_f64 v[116:117], v[116:117], -v[143:144]
	v_fma_f64 v[154:155], v[98:99], s[18:19], v[132:133]
	v_fma_f64 v[132:133], v[98:99], s[18:19], -v[132:133]
	v_fma_f64 v[156:157], v[98:99], s[14:15], v[134:135]
	v_fma_f64 v[134:135], v[98:99], s[14:15], -v[134:135]
	v_fma_f64 v[98:99], v[98:99], s[16:17], v[140:141]
	v_add_f64 v[104:105], v[112:113], -v[104:105]
	v_mul_f64 v[140:141], v[100:101], s[36:37]
	v_mul_f64 v[143:144], v[100:101], s[28:29]
	v_fma_f64 v[162:163], v[96:97], s[20:21], v[146:147]
	v_fma_f64 v[146:147], v[96:97], s[20:21], -v[146:147]
	v_fma_f64 v[164:165], v[96:97], s[16:17], v[148:149]
	v_fma_f64 v[148:149], v[96:97], s[16:17], -v[148:149]
	;; [unrolled: 2-line block ×3, first 2 shown]
	v_add_f64 v[114:115], v[114:115], -v[152:153]
	v_add_f64 v[102:103], v[110:111], -v[102:103]
	v_fma_f64 v[170:171], v[94:95], s[20:21], v[160:161]
	v_fma_f64 v[160:161], v[94:95], s[20:21], -v[160:161]
	v_add_f64 v[130:131], v[52:53], v[130:131]
	v_add_f64 v[152:153], v[4:5], v[158:159]
	;; [unrolled: 1-line block ×9, first 2 shown]
	v_mul_f64 v[154:155], v[126:127], s[30:31]
	v_mul_f64 v[156:157], v[126:127], s[8:9]
	;; [unrolled: 1-line block ×3, first 2 shown]
	v_fma_f64 v[168:169], v[94:95], s[14:15], v[143:144]
	v_fma_f64 v[143:144], v[94:95], s[14:15], -v[143:144]
	v_add_f64 v[130:131], v[76:77], v[130:131]
	v_add_f64 v[96:97], v[96:97], v[152:153]
	;; [unrolled: 1-line block ×6, first 2 shown]
	v_mul_f64 v[134:135], v[128:129], s[24:25]
	v_fma_f64 v[148:149], v[92:93], s[6:7], -v[156:157]
	v_fma_f64 v[152:153], v[92:93], s[18:19], -v[158:159]
	v_add_f64 v[120:121], v[120:121], -v[154:155]
	v_add_f64 v[112:113], v[68:69], v[130:131]
	v_mul_f64 v[130:131], v[100:101], s[24:25]
	v_mul_f64 v[100:101], v[100:101], s[8:9]
	v_add_f64 v[104:105], v[64:65], v[112:113]
	v_mul_f64 v[112:113], v[126:127], s[28:29]
	v_mul_f64 v[126:127], v[126:127], s[34:35]
	v_fma_f64 v[172:173], v[94:95], s[6:7], v[100:101]
	v_fma_f64 v[94:95], v[94:95], s[6:7], -v[100:101]
	v_add_f64 v[100:101], v[108:109], -v[140:141]
	v_add_f64 v[108:109], v[162:163], v[110:111]
	v_add_f64 v[110:111], v[146:147], v[132:133]
	v_add_f64 v[106:107], v[106:107], -v[130:131]
	v_add_f64 v[130:131], v[164:165], v[150:151]
	v_mul_f64 v[132:133], v[128:129], s[26:27]
	v_mul_f64 v[140:141], v[128:129], s[8:9]
	v_fma_f64 v[146:147], v[92:93], s[6:7], v[156:157]
	v_fma_f64 v[150:151], v[92:93], s[18:19], v[158:159]
	v_add_f64 v[102:103], v[56:57], v[104:105]
	v_mul_f64 v[104:105], v[128:129], s[22:23]
	v_mul_f64 v[128:129], v[128:129], s[28:29]
	v_fma_f64 v[156:157], v[92:93], s[20:21], v[126:127]
	v_fma_f64 v[92:93], v[92:93], s[20:21], -v[126:127]
	v_add_f64 v[94:95], v[94:95], v[96:97]
	v_add_f64 v[96:97], v[100:101], v[114:115]
	;; [unrolled: 1-line block ×5, first 2 shown]
	v_add_f64 v[112:113], v[118:119], -v[112:113]
	v_add_f64 v[118:119], v[170:171], v[130:131]
	v_add_f64 v[98:99], v[172:173], v[98:99]
	;; [unrolled: 1-line block ×3, first 2 shown]
	v_fma_f64 v[106:107], v[0:1], s[16:17], v[134:135]
	v_fma_f64 v[114:115], v[0:1], s[16:17], -v[134:135]
	v_fma_f64 v[116:117], v[0:1], s[6:7], v[140:141]
	v_fma_f64 v[126:127], v[0:1], s[6:7], -v[140:141]
	v_add_f64 v[122:123], v[122:123], -v[132:133]
	v_add_f64 v[102:103], v[32:33], v[102:103]
	v_add_f64 v[104:105], v[124:125], -v[104:105]
	v_fma_f64 v[130:131], v[0:1], s[14:15], v[128:129]
	v_fma_f64 v[0:1], v[0:1], s[14:15], -v[128:129]
	v_add_f64 v[92:93], v[92:93], v[94:95]
	v_add_f64 v[94:95], v[120:121], v[96:97]
	;; [unrolled: 1-line block ×14, first 2 shown]
	v_add_nc_u32_e32 v110, 0x12e8, v145
	v_add_f64 v[108:109], v[116:117], v[118:119]
	v_add_f64 v[96:97], v[130:131], v[98:99]
	;; [unrolled: 1-line block ×3, first 2 shown]
	v_add_nc_u32_e32 v104, 0x1318, v145
	v_add_nc_u32_e32 v105, 0x1328, v145
	v_add_f64 v[98:99], v[16:17], v[100:101]
	v_add_nc_u32_e32 v100, 0x12f8, v145
	v_add_nc_u32_e32 v101, 0x1308, v145
	ds_write2_b64 v100, v[92:93], v[0:1] offset1:1
	ds_write2_b64 v101, v[94:95], v[106:107] offset1:1
	;; [unrolled: 1-line block ×5, first 2 shown]
	ds_write_b64 v145, v[82:83] offset:4920
.LBB0_17:
	s_or_b32 exec_lo, exec_lo, s0
	v_mad_i32_i24 v143, 0xffffffb0, v142, v145
	s_waitcnt lgkmcnt(0)
	s_barrier
	buffer_gl0_inv
	v_cmp_gt_u32_e64 s0, 11, v142
	v_add_nc_u32_e32 v0, 0x400, v143
	v_add_nc_u32_e32 v1, 0xc00, v143
	v_add_nc_u32_e32 v4, 0x1000, v143
	ds_read2_b64 v[92:95], v143 offset1:55
	v_add_nc_u32_e32 v5, 0x1800, v143
	ds_read2_b64 v[120:123], v0 offset0:103 offset1:158
	ds_read2_b64 v[116:119], v1 offset0:78 offset1:133
	v_add_nc_u32_e32 v0, 0x800, v143
	v_add_nc_u32_e32 v1, 0x2000, v143
	ds_read2_b64 v[128:131], v4 offset0:181 offset1:236
	ds_read2_b64 v[124:127], v5 offset0:156 offset1:211
	;; [unrolled: 1-line block ×7, first 2 shown]
                                        ; implicit-def: $vgpr140_vgpr141
                                        ; implicit-def: $vgpr134_vgpr135
	s_and_saveexec_b32 s6, s0
	s_cbranch_execz .LBB0_19
; %bb.18:
	v_add_nc_u32_e32 v0, 0x680, v143
	v_add_nc_u32_e32 v1, 0x1500, v143
	ds_read2_b64 v[80:83], v0 offset0:12 offset1:243
	ds_read2_b64 v[132:135], v1 offset0:10 offset1:241
	ds_read_b64 v[140:141], v143 offset:9152
.LBB0_19:
	s_or_b32 exec_lo, exec_lo, s6
	v_add_f64 v[0:1], v[90:91], v[2:3]
	v_add_f64 v[152:153], v[72:73], -v[28:29]
	v_add_f64 v[72:73], v[36:37], -v[16:17]
	;; [unrolled: 1-line block ×3, first 2 shown]
	v_add_f64 v[150:151], v[30:31], v[74:75]
	s_mov_b32 s20, 0xf8bb580b
	s_mov_b32 s38, 0x8eee2c13
	;; [unrolled: 1-line block ×10, first 2 shown]
	v_add_f64 v[90:91], v[10:11], v[90:91]
	v_add_f64 v[84:85], v[84:85], -v[12:13]
	v_add_f64 v[146:147], v[22:23], v[62:63]
	v_add_f64 v[148:149], v[60:61], -v[20:21]
	;; [unrolled: 2-line block ×3, first 2 shown]
	v_add_f64 v[40:41], v[18:19], v[38:39]
	v_add_f64 v[0:1], v[86:87], v[0:1]
	v_add_f64 v[60:61], v[48:49], -v[24:25]
	v_add_f64 v[20:21], v[76:77], -v[56:57]
	;; [unrolled: 1-line block ×3, first 2 shown]
	v_mul_f64 v[48:49], v[88:89], s[20:21]
	v_mul_f64 v[68:69], v[88:89], s[38:39]
	;; [unrolled: 1-line block ×6, first 2 shown]
	s_mov_b32 s8, 0x8764f0ba
	s_mov_b32 s6, 0xd9c712b6
	;; [unrolled: 1-line block ×12, first 2 shown]
	v_add_f64 v[16:17], v[62:63], v[0:1]
	v_mul_f64 v[62:63], v[72:73], s[20:21]
	s_mov_b32 s30, s26
	s_mov_b32 s34, s14
	;; [unrolled: 1-line block ×4, first 2 shown]
	v_add_f64 v[86:87], v[14:15], v[86:87]
	v_add_f64 v[28:29], v[26:27], v[50:51]
	v_add_f64 v[24:25], v[52:53], -v[32:33]
	v_mul_f64 v[160:161], v[84:85], s[38:39]
	v_mul_f64 v[162:163], v[84:85], s[24:25]
	;; [unrolled: 1-line block ×12, first 2 shown]
	v_fma_f64 v[184:185], v[90:91], s[8:9], v[48:49]
	v_add_f64 v[74:75], v[74:75], v[16:17]
	v_fma_f64 v[48:49], v[90:91], s[8:9], -v[48:49]
	v_fma_f64 v[186:187], v[90:91], s[6:7], v[68:69]
	v_fma_f64 v[68:69], v[90:91], s[6:7], -v[68:69]
	v_fma_f64 v[188:189], v[90:91], s[16:17], v[76:77]
	;; [unrolled: 2-line block ×3, first 2 shown]
	v_fma_f64 v[158:159], v[90:91], s[18:19], -v[158:159]
	v_fma_f64 v[202:203], v[40:41], s[8:9], -v[62:63]
	;; [unrolled: 1-line block ×3, first 2 shown]
	v_add_f64 v[12:13], v[34:35], v[54:55]
	v_mul_f64 v[32:33], v[24:25], s[14:15]
	v_mul_f64 v[36:37], v[24:25], s[30:31]
	v_fma_f64 v[192:193], v[86:87], s[18:19], v[162:163]
	v_fma_f64 v[162:163], v[86:87], s[18:19], -v[162:163]
	v_fma_f64 v[194:195], v[86:87], s[22:23], v[164:165]
	v_fma_f64 v[164:165], v[86:87], s[22:23], -v[164:165]
	;; [unrolled: 2-line block ×4, first 2 shown]
	v_fma_f64 v[200:201], v[146:147], s[22:23], v[170:171]
	v_add_f64 v[42:43], v[42:43], v[74:75]
	v_fma_f64 v[74:75], v[90:91], s[22:23], v[88:89]
	v_fma_f64 v[88:89], v[90:91], s[22:23], -v[88:89]
	v_fma_f64 v[90:91], v[86:87], s[6:7], v[160:161]
	v_fma_f64 v[160:161], v[86:87], s[6:7], -v[160:161]
	;; [unrolled: 2-line block ×3, first 2 shown]
	v_fma_f64 v[170:171], v[146:147], s[22:23], -v[170:171]
	v_fma_f64 v[206:207], v[146:147], s[6:7], v[172:173]
	v_add_f64 v[184:185], v[2:3], v[184:185]
	v_add_f64 v[48:49], v[2:3], v[48:49]
	;; [unrolled: 1-line block ×5, first 2 shown]
	v_fma_f64 v[208:209], v[28:29], s[18:19], -v[56:57]
	v_add_f64 v[202:203], v[6:7], v[202:203]
	v_add_f64 v[204:205], v[6:7], v[204:205]
	;; [unrolled: 1-line block ×3, first 2 shown]
	v_mul_f64 v[176:177], v[152:153], s[24:25]
	v_mul_f64 v[178:179], v[152:153], s[34:35]
	;; [unrolled: 1-line block ×4, first 2 shown]
	v_add_f64 v[42:43], v[46:47], v[42:43]
	v_fma_f64 v[46:47], v[146:147], s[6:7], -v[172:173]
	v_add_f64 v[172:173], v[2:3], v[186:187]
	v_add_f64 v[186:187], v[2:3], v[188:189]
	;; [unrolled: 1-line block ×5, first 2 shown]
	v_fma_f64 v[88:89], v[146:147], s[8:9], v[174:175]
	v_fma_f64 v[174:175], v[146:147], s[8:9], -v[174:175]
	v_fma_f64 v[190:191], v[146:147], s[18:19], v[148:149]
	v_fma_f64 v[146:147], v[146:147], s[18:19], -v[148:149]
	v_fma_f64 v[148:149], v[28:29], s[6:7], -v[52:53]
	v_mul_f64 v[152:153], v[152:153], s[28:29]
	v_mul_f64 v[16:17], v[20:21], s[24:25]
	v_mul_f64 v[44:45], v[20:21], s[34:35]
	v_add_f64 v[90:91], v[90:91], v[184:185]
	v_add_f64 v[48:49], v[160:161], v[48:49]
	;; [unrolled: 1-line block ×5, first 2 shown]
	v_fma_f64 v[184:185], v[12:13], s[16:17], -v[32:33]
	v_add_f64 v[0:1], v[66:67], v[70:71]
	v_add_f64 v[30:31], v[30:31], v[42:43]
	v_fma_f64 v[210:211], v[150:151], s[18:19], v[176:177]
	v_add_f64 v[160:161], v[192:193], v[172:173]
	v_add_f64 v[162:163], v[194:195], v[186:187]
	;; [unrolled: 1-line block ×3, first 2 shown]
	v_fma_f64 v[186:187], v[12:13], s[22:23], -v[36:37]
	v_add_f64 v[2:3], v[84:85], v[2:3]
	v_add_f64 v[188:189], v[208:209], v[204:205]
	;; [unrolled: 1-line block ×3, first 2 shown]
	v_fma_f64 v[176:177], v[150:151], s[18:19], -v[176:177]
	v_fma_f64 v[42:43], v[150:151], s[16:17], v[178:179]
	v_add_f64 v[148:149], v[148:149], v[202:203]
	v_fma_f64 v[84:85], v[150:151], s[16:17], -v[178:179]
	v_fma_f64 v[166:167], v[150:151], s[8:9], v[180:181]
	v_fma_f64 v[172:173], v[150:151], s[8:9], -v[180:181]
	v_fma_f64 v[178:179], v[150:151], s[22:23], v[182:183]
	;; [unrolled: 2-line block ×3, first 2 shown]
	v_add_f64 v[86:87], v[86:87], v[90:91]
	v_add_f64 v[48:49], v[168:169], v[48:49]
	;; [unrolled: 1-line block ×5, first 2 shown]
	v_fma_f64 v[30:31], v[150:151], s[6:7], -v[152:153]
	v_add_f64 v[90:91], v[200:201], v[160:161]
	v_add_f64 v[150:151], v[206:207], v[162:163]
	;; [unrolled: 1-line block ×5, first 2 shown]
	v_mul_f64 v[152:153], v[156:157], s[26:27]
	v_mul_f64 v[158:159], v[156:157], s[36:37]
	;; [unrolled: 1-line block ×6, first 2 shown]
	v_fma_f64 v[164:165], v[4:5], s[18:19], -v[16:17]
	v_fma_f64 v[168:169], v[4:5], s[16:17], -v[44:45]
	v_add_f64 v[148:149], v[184:185], v[148:149]
	v_add_f64 v[170:171], v[186:187], v[188:189]
	;; [unrolled: 1-line block ×8, first 2 shown]
	v_mul_f64 v[14:15], v[8:9], s[36:37]
	v_add_f64 v[42:43], v[42:43], v[90:91]
	v_add_f64 v[84:85], v[166:167], v[150:151]
	;; [unrolled: 1-line block ×5, first 2 shown]
	v_fma_f64 v[90:91], v[154:155], s[22:23], v[152:153]
	v_fma_f64 v[146:147], v[154:155], s[22:23], -v[152:153]
	v_fma_f64 v[150:151], v[154:155], s[8:9], v[158:159]
	v_fma_f64 v[152:153], v[154:155], s[8:9], -v[158:159]
	;; [unrolled: 2-line block ×5, first 2 shown]
	v_add_f64 v[148:149], v[164:165], v[148:149]
	v_add_f64 v[156:157], v[168:169], v[170:171]
	v_fma_f64 v[164:165], v[0:1], s[22:23], -v[2:3]
	v_add_f64 v[74:75], v[182:183], v[74:75]
	v_add_nc_u32_e32 v144, 55, v142
	v_add_f64 v[22:23], v[10:11], v[22:23]
	v_fma_f64 v[168:169], v[0:1], s[8:9], -v[14:15]
	s_waitcnt lgkmcnt(0)
	s_barrier
	buffer_gl0_inv
	v_add_f64 v[86:87], v[90:91], v[86:87]
	v_add_f64 v[90:91], v[146:147], v[48:49]
	;; [unrolled: 1-line block ×11, first 2 shown]
	ds_write2_b64 v145, v[42:43], v[84:85] offset0:2 offset1:3
	ds_write2_b64 v145, v[76:77], v[74:75] offset0:4 offset1:5
	;; [unrolled: 1-line block ×3, first 2 shown]
	ds_write2_b64 v145, v[22:23], v[86:87] offset1:1
	ds_write2_b64 v145, v[46:47], v[68:69] offset0:8 offset1:9
	ds_write_b64 v145, v[90:91] offset:80
	v_add_f64 v[48:49], v[168:169], v[156:157]
	s_and_saveexec_b32 s33, s1
	s_cbranch_execz .LBB0_21
; %bb.20:
	v_add_f64 v[22:23], v[38:39], v[6:7]
	v_mul_f64 v[30:31], v[40:41], s[8:9]
	v_mul_f64 v[38:39], v[40:41], s[6:7]
	;; [unrolled: 1-line block ×8, first 2 shown]
	v_add_f64 v[22:23], v[50:51], v[22:23]
	v_mul_f64 v[50:51], v[72:73], s[26:27]
	v_mul_f64 v[72:73], v[60:61], s[30:31]
	;; [unrolled: 1-line block ×3, first 2 shown]
	v_add_f64 v[30:31], v[30:31], v[62:63]
	v_add_f64 v[38:39], v[38:39], v[64:65]
	v_fma_f64 v[62:63], v[40:41], s[16:17], v[42:43]
	v_fma_f64 v[64:65], v[40:41], s[18:19], v[46:47]
	v_fma_f64 v[46:47], v[40:41], s[18:19], -v[46:47]
	v_add_f64 v[22:23], v[54:55], v[22:23]
	v_mul_f64 v[54:55], v[28:29], s[6:7]
	v_fma_f64 v[76:77], v[40:41], s[22:23], v[50:51]
	v_fma_f64 v[50:51], v[40:41], s[22:23], -v[50:51]
	v_fma_f64 v[40:41], v[40:41], s[16:17], -v[42:43]
	v_mul_f64 v[42:43], v[12:13], s[16:17]
	v_fma_f64 v[86:87], v[28:29], s[8:9], v[60:61]
	v_add_f64 v[30:31], v[6:7], v[30:31]
	v_add_f64 v[38:39], v[6:7], v[38:39]
	;; [unrolled: 1-line block ×4, first 2 shown]
	v_mul_f64 v[78:79], v[24:25], s[28:29]
	v_mul_f64 v[24:25], v[24:25], s[24:25]
	v_add_f64 v[52:53], v[54:55], v[52:53]
	v_add_f64 v[54:55], v[68:69], v[56:57]
	v_fma_f64 v[56:57], v[28:29], s[22:23], v[72:73]
	v_fma_f64 v[68:69], v[28:29], s[22:23], -v[72:73]
	v_fma_f64 v[72:73], v[28:29], s[16:17], v[74:75]
	v_fma_f64 v[74:75], v[28:29], s[16:17], -v[74:75]
	v_fma_f64 v[28:29], v[28:29], s[8:9], -v[60:61]
	v_add_f64 v[60:61], v[6:7], v[62:63]
	v_add_f64 v[62:63], v[6:7], v[64:65]
	;; [unrolled: 1-line block ×5, first 2 shown]
	v_mul_f64 v[40:41], v[4:5], s[18:19]
	v_mul_f64 v[76:77], v[20:21], s[20:21]
	;; [unrolled: 1-line block ×3, first 2 shown]
	v_add_f64 v[32:33], v[42:43], v[32:33]
	v_add_f64 v[22:23], v[70:71], v[22:23]
	v_mul_f64 v[70:71], v[12:13], s[22:23]
	v_fma_f64 v[42:43], v[12:13], s[6:7], v[78:79]
	v_fma_f64 v[90:91], v[12:13], s[18:19], v[24:25]
	v_add_f64 v[46:47], v[74:75], v[46:47]
	v_add_f64 v[28:29], v[28:29], v[50:51]
	;; [unrolled: 1-line block ×3, first 2 shown]
	v_mul_f64 v[50:51], v[0:1], s[22:23]
	v_add_f64 v[16:17], v[40:41], v[16:17]
	v_fma_f64 v[68:69], v[4:5], s[6:7], v[20:21]
	v_add_f64 v[22:23], v[66:67], v[22:23]
	v_mul_f64 v[66:67], v[4:5], s[16:17]
	v_add_f64 v[36:37], v[70:71], v[36:37]
	v_fma_f64 v[70:71], v[12:13], s[6:7], -v[78:79]
	v_fma_f64 v[78:79], v[12:13], s[8:9], v[84:85]
	v_fma_f64 v[84:85], v[12:13], s[8:9], -v[84:85]
	v_fma_f64 v[12:13], v[12:13], s[18:19], -v[24:25]
	v_add_f64 v[24:25], v[52:53], v[30:31]
	v_add_f64 v[30:31], v[54:55], v[38:39]
	;; [unrolled: 1-line block ×5, first 2 shown]
	v_mul_f64 v[56:57], v[0:1], s[8:9]
	v_mul_f64 v[60:61], v[8:9], s[28:29]
	v_fma_f64 v[62:63], v[4:5], s[8:9], -v[76:77]
	v_fma_f64 v[64:65], v[4:5], s[22:23], v[88:89]
	v_add_f64 v[2:3], v[50:51], v[2:3]
	v_add_f64 v[22:23], v[58:59], v[22:23]
	v_mul_f64 v[58:59], v[8:9], s[24:25]
	v_mul_f64 v[8:9], v[8:9], s[14:15]
	v_add_f64 v[40:41], v[66:67], v[44:45]
	v_fma_f64 v[44:45], v[4:5], s[8:9], v[76:77]
	v_fma_f64 v[66:67], v[4:5], s[22:23], -v[88:89]
	v_fma_f64 v[4:5], v[4:5], s[6:7], -v[20:21]
	v_add_f64 v[20:21], v[32:33], v[24:25]
	v_add_f64 v[24:25], v[36:37], v[30:31]
	;; [unrolled: 1-line block ×9, first 2 shown]
	v_fma_f64 v[42:43], v[0:1], s[6:7], v[60:61]
	v_fma_f64 v[46:47], v[0:1], s[6:7], -v[60:61]
	v_add_f64 v[22:23], v[34:35], v[22:23]
	v_fma_f64 v[28:29], v[0:1], s[18:19], v[58:59]
	v_fma_f64 v[34:35], v[0:1], s[18:19], -v[58:59]
	v_fma_f64 v[50:51], v[0:1], s[16:17], v[8:9]
	v_fma_f64 v[0:1], v[0:1], s[16:17], -v[8:9]
	v_add_f64 v[8:9], v[16:17], v[20:21]
	v_add_f64 v[16:17], v[40:41], v[24:25]
	;; [unrolled: 1-line block ×18, first 2 shown]
	v_mad_u32_u24 v12, 0x58, v144, 0
	ds_write2_b64 v12, v[8:9], v[14:15] offset0:2 offset1:3
	ds_write2_b64 v12, v[16:17], v[22:23] offset0:4 offset1:5
	;; [unrolled: 1-line block ×4, first 2 shown]
	ds_write2_b64 v12, v[6:7], v[2:3] offset1:1
	ds_write_b64 v12, v[10:11] offset:80
.LBB0_21:
	s_or_b32 exec_lo, exec_lo, s33
	v_add_nc_u32_e32 v4, 0x400, v143
	v_add_nc_u32_e32 v8, 0x1000, v143
	;; [unrolled: 1-line block ×6, first 2 shown]
	s_waitcnt lgkmcnt(0)
	s_barrier
	buffer_gl0_inv
	ds_read2_b64 v[0:3], v143 offset1:55
	ds_read2_b64 v[36:39], v4 offset0:103 offset1:158
	ds_read2_b64 v[32:35], v5 offset0:78 offset1:133
	;; [unrolled: 1-line block ×9, first 2 shown]
                                        ; implicit-def: $vgpr50_vgpr51
                                        ; implicit-def: $vgpr14_vgpr15
	s_and_saveexec_b32 s1, s0
	s_cbranch_execz .LBB0_23
; %bb.22:
	v_add_nc_u32_e32 v8, 0x680, v143
	v_add_nc_u32_e32 v12, 0x1500, v143
	ds_read2_b64 v[8:11], v8 offset0:12 offset1:243
	ds_read2_b64 v[12:15], v12 offset0:10 offset1:241
	ds_read_b64 v[50:51], v143 offset:9152
	s_waitcnt lgkmcnt(2)
	v_mov_b32_e32 v49, v9
	v_mov_b32_e32 v48, v8
.LBB0_23:
	s_or_b32 exec_lo, exec_lo, s1
	v_and_b32_e32 v8, 0xff, v142
	v_add_nc_u32_e32 v145, 0x6e, v142
	v_and_b32_e32 v9, 0xff, v144
	v_add_nc_u32_e32 v146, 0xdc, v142
	v_mov_b32_e32 v52, 0xba2f
	v_mul_lo_u16 v8, 0x75, v8
	v_and_b32_e32 v148, 0xff, v145
	v_mul_lo_u16 v9, 0x75, v9
	v_add_nc_u32_e32 v147, 0xa5, v142
	v_mul_u32_u24_sdwa v52, v146, v52 dst_sel:DWORD dst_unused:UNUSED_PAD src0_sel:WORD_0 src1_sel:DWORD
	v_lshrrev_b16 v8, 8, v8
	v_mul_lo_u16 v54, 0x75, v148
	v_lshrrev_b16 v9, 8, v9
	v_and_b32_e32 v55, 0xff, v147
	v_lshrrev_b32_e32 v52, 19, v52
	v_sub_nc_u16 v53, v142, v8
	v_lshrrev_b16 v54, 8, v54
	v_sub_nc_u16 v57, v144, v9
	v_mul_lo_u16 v55, 0x75, v55
	v_mul_lo_u16 v52, v52, 11
	v_lshrrev_b16 v53, 1, v53
	v_mov_b32_e32 v56, 6
	v_lshrrev_b16 v57, 1, v57
	v_lshrrev_b16 v70, 8, v55
	v_sub_nc_u16 v52, v146, v52
	v_and_b32_e32 v53, 0x7f, v53
	v_mov_b32_e32 v234, 3
	v_and_b32_e32 v55, 0x7f, v57
	s_mov_b32 s16, 0x134454ff
	v_and_b32_e32 v57, 0xffff, v52
	v_add_nc_u16 v8, v53, v8
	v_sub_nc_u16 v53, v145, v54
	v_sub_nc_u16 v52, v147, v70
	v_add_nc_u16 v9, v55, v9
	v_lshlrev_b32_e32 v62, 6, v57
	v_lshrrev_b16 v8, 3, v8
	v_lshrrev_b16 v53, 1, v53
	;; [unrolled: 1-line block ×4, first 2 shown]
	v_lshl_add_u32 v149, v57, 3, 0
	v_mul_lo_u16 v55, v8, 11
	v_and_b32_e32 v53, 0x7f, v53
	v_and_b32_e32 v71, 0x7f, v63
	v_mul_lo_u16 v65, v9, 11
	s_mov_b32 s17, 0x3fee6f0e
	v_sub_nc_u16 v78, v142, v55
	v_add_nc_u16 v64, v53, v54
	s_clause 0x3
	global_load_dwordx4 v[52:55], v62, s[12:13] offset:16
	global_load_dwordx4 v[58:61], v62, s[12:13]
	global_load_dwordx4 v[150:153], v62, s[12:13] offset:48
	global_load_dwordx4 v[154:157], v62, s[12:13] offset:32
	v_add_nc_u16 v85, v71, v70
	v_sub_nc_u16 v79, v144, v65
	v_lshrrev_b16 v84, 3, v64
	v_lshlrev_b32_sdwa v74, v56, v78 dst_sel:DWORD dst_unused:UNUSED_PAD src0_sel:DWORD src1_sel:BYTE_0
	v_lshlrev_b32_sdwa v239, v234, v78 dst_sel:DWORD dst_unused:UNUSED_PAD src0_sel:DWORD src1_sel:BYTE_0
	v_lshrrev_b16 v85, 3, v85
	v_lshlrev_b32_sdwa v90, v56, v79 dst_sel:DWORD dst_unused:UNUSED_PAD src0_sel:DWORD src1_sel:BYTE_0
	v_mul_lo_u16 v91, v84, 11
	s_clause 0x5
	global_load_dwordx4 v[62:65], v74, s[12:13]
	global_load_dwordx4 v[66:69], v74, s[12:13] offset:16
	global_load_dwordx4 v[70:73], v74, s[12:13] offset:32
	;; [unrolled: 1-line block ×3, first 2 shown]
	global_load_dwordx4 v[86:89], v90, s[12:13]
	global_load_dwordx4 v[158:161], v90, s[12:13] offset:16
	v_sub_nc_u16 v232, v145, v91
	v_mul_lo_u16 v91, v85, 11
	s_clause 0x1
	global_load_dwordx4 v[162:165], v90, s[12:13] offset:32
	global_load_dwordx4 v[166:169], v90, s[12:13] offset:48
	v_lshlrev_b32_sdwa v240, v234, v79 dst_sel:DWORD dst_unused:UNUSED_PAD src0_sel:DWORD src1_sel:BYTE_0
	v_lshlrev_b32_sdwa v90, v56, v232 dst_sel:DWORD dst_unused:UNUSED_PAD src0_sel:DWORD src1_sel:BYTE_0
	v_sub_nc_u16 v233, v147, v91
	s_mov_b32 s19, 0xbfee6f0e
	s_mov_b32 s18, s16
	s_clause 0x1
	global_load_dwordx4 v[170:173], v90, s[12:13]
	global_load_dwordx4 v[174:177], v90, s[12:13] offset:16
	v_lshlrev_b32_sdwa v56, v56, v233 dst_sel:DWORD dst_unused:UNUSED_PAD src0_sel:DWORD src1_sel:BYTE_0
	s_clause 0x5
	global_load_dwordx4 v[178:181], v90, s[12:13] offset:32
	global_load_dwordx4 v[182:185], v90, s[12:13] offset:48
	global_load_dwordx4 v[186:189], v56, s[12:13]
	global_load_dwordx4 v[190:193], v56, s[12:13] offset:16
	global_load_dwordx4 v[194:197], v56, s[12:13] offset:32
	global_load_dwordx4 v[198:201], v56, s[12:13] offset:48
	v_mov_b32_e32 v56, 0x1b8
	s_mov_b32 s8, 0x4755a5e
	s_mov_b32 s9, 0x3fe2cf23
	;; [unrolled: 1-line block ×4, first 2 shown]
	v_mul_u32_u24_sdwa v235, v8, v56 dst_sel:DWORD dst_unused:UNUSED_PAD src0_sel:WORD_0 src1_sel:DWORD
	v_mul_u32_u24_sdwa v236, v9, v56 dst_sel:DWORD dst_unused:UNUSED_PAD src0_sel:WORD_0 src1_sel:DWORD
	;; [unrolled: 1-line block ×4, first 2 shown]
	s_mov_b32 s6, 0x372fe950
	s_mov_b32 s7, 0x3fd3c6ef
	s_waitcnt vmcnt(0) lgkmcnt(0)
	s_barrier
	buffer_gl0_inv
	v_mul_f64 v[78:79], v[12:13], v[54:55]
	v_mul_f64 v[8:9], v[10:11], v[60:61]
	;; [unrolled: 1-line block ×21, first 2 shown]
	v_fma_f64 v[56:57], v[82:83], v[58:59], -v[8:9]
	v_fma_f64 v[54:55], v[10:11], v[58:59], v[60:61]
	v_fma_f64 v[58:59], v[132:133], v[52:53], -v[78:79]
	v_fma_f64 v[52:53], v[12:13], v[52:53], v[84:85]
	v_fma_f64 v[60:61], v[134:135], v[154:155], -v[90:91]
	v_mul_f64 v[12:13], v[28:29], v[172:173]
	v_mul_f64 v[132:133], v[112:113], v[172:173]
	;; [unrolled: 1-line block ×12, first 2 shown]
	v_fma_f64 v[90:91], v[120:121], v[62:63], -v[204:205]
	v_fma_f64 v[116:117], v[116:117], v[66:67], -v[206:207]
	;; [unrolled: 1-line block ×4, first 2 shown]
	v_mul_f64 v[168:169], v[126:127], v[168:169]
	v_fma_f64 v[78:79], v[118:119], v[158:159], -v[216:217]
	v_fma_f64 v[82:83], v[130:131], v[162:163], -v[218:219]
	v_mul_f64 v[160:161], v[118:119], v[160:161]
	v_fma_f64 v[88:89], v[36:37], v[62:63], v[64:65]
	v_fma_f64 v[84:85], v[122:123], v[86:87], -v[212:213]
	v_fma_f64 v[64:65], v[38:39], v[86:87], v[214:215]
	v_fma_f64 v[86:87], v[126:127], v[166:167], -v[220:221]
	v_mul_f64 v[184:185], v[100:101], v[184:185]
	v_fma_f64 v[36:37], v[44:45], v[70:71], v[72:73]
	v_fma_f64 v[70:71], v[108:109], v[174:175], -v[134:135]
	v_fma_f64 v[72:73], v[104:105], v[178:179], -v[176:177]
	v_mul_f64 v[180:181], v[104:105], v[180:181]
	v_fma_f64 v[62:63], v[32:33], v[66:67], v[68:69]
	v_fma_f64 v[8:9], v[40:41], v[74:75], v[76:77]
	v_fma_f64 v[68:69], v[112:113], v[170:171], -v[12:13]
	v_fma_f64 v[76:77], v[100:101], v[182:183], -v[222:223]
	v_mul_f64 v[200:201], v[102:103], v[200:201]
	v_fma_f64 v[38:39], v[28:29], v[170:171], v[132:133]
	v_fma_f64 v[28:29], v[24:25], v[174:175], v[172:173]
	;; [unrolled: 1-line block ×3, first 2 shown]
	v_fma_f64 v[30:31], v[110:111], v[190:191], -v[226:227]
	v_fma_f64 v[66:67], v[106:107], v[194:195], -v[228:229]
	v_mul_f64 v[192:193], v[110:111], v[192:193]
	v_mul_f64 v[196:197], v[106:107], v[196:197]
	v_fma_f64 v[32:33], v[46:47], v[162:163], v[164:165]
	v_fma_f64 v[46:47], v[114:115], v[186:187], -v[224:225]
	v_fma_f64 v[74:75], v[102:103], v[198:199], -v[230:231]
	v_add_f64 v[40:41], v[116:117], v[120:121]
	v_add_f64 v[104:105], v[90:91], v[124:125]
	v_fma_f64 v[10:11], v[42:43], v[166:167], v[168:169]
	v_add_f64 v[112:113], v[78:79], v[82:83]
	v_fma_f64 v[34:35], v[34:35], v[158:159], v[160:161]
	;; [unrolled: 2-line block ×4, first 2 shown]
	v_add_f64 v[100:101], v[90:91], -v[116:117]
	v_add_f64 v[160:161], v[68:69], v[76:77]
	v_fma_f64 v[16:17], v[18:19], v[198:199], v[200:201]
	v_add_f64 v[102:103], v[124:125], -v[120:121]
	v_add_f64 v[18:19], v[92:93], v[90:91]
	v_add_f64 v[42:43], v[88:89], -v[8:9]
	v_add_f64 v[44:45], v[62:63], -v[36:37]
	v_add_f64 v[164:165], v[30:31], v[66:67]
	v_fma_f64 v[26:27], v[26:27], v[190:191], v[192:193]
	v_fma_f64 v[22:23], v[22:23], v[194:195], v[196:197]
	v_add_f64 v[106:107], v[116:117], -v[90:91]
	v_add_f64 v[108:109], v[120:121], -v[124:125]
	v_add_f64 v[166:167], v[46:47], v[74:75]
	v_fma_f64 v[40:41], v[40:41], -0.5, v[92:93]
	v_fma_f64 v[92:93], v[104:105], -0.5, v[92:93]
	v_add_f64 v[110:111], v[94:95], v[84:85]
	v_add_f64 v[114:115], v[64:65], -v[10:11]
	v_fma_f64 v[112:113], v[112:113], -0.5, v[94:95]
	v_add_f64 v[118:119], v[34:35], -v[32:33]
	v_add_f64 v[122:123], v[84:85], -v[78:79]
	;; [unrolled: 1-line block ×7, first 2 shown]
	v_fma_f64 v[94:95], v[128:129], -0.5, v[94:95]
	v_add_f64 v[158:159], v[96:97], v[68:69]
	v_add_f64 v[162:163], v[38:39], -v[12:13]
	v_fma_f64 v[134:135], v[134:135], -0.5, v[96:97]
	v_add_f64 v[168:169], v[28:29], -v[20:21]
	v_add_f64 v[174:175], v[70:71], -v[68:69]
	v_add_f64 v[176:177], v[72:73], -v[76:77]
	v_fma_f64 v[96:97], v[160:161], -0.5, v[96:97]
	v_add_f64 v[178:179], v[98:99], v[46:47]
	v_add_f64 v[180:181], v[24:25], -v[16:17]
	v_add_f64 v[100:101], v[100:101], v[102:103]
	v_fma_f64 v[102:103], v[164:165], -0.5, v[98:99]
	v_add_f64 v[182:183], v[26:27], -v[22:23]
	v_fma_f64 v[98:99], v[166:167], -0.5, v[98:99]
	v_add_f64 v[18:19], v[18:19], v[116:117]
	v_fma_f64 v[160:161], v[42:43], s[16:17], v[40:41]
	v_fma_f64 v[164:165], v[44:45], s[18:19], v[92:93]
	;; [unrolled: 1-line block ×3, first 2 shown]
	v_add_f64 v[184:185], v[46:47], -v[30:31]
	v_add_f64 v[104:105], v[74:75], -v[66:67]
	v_fma_f64 v[40:41], v[42:43], s[18:19], v[40:41]
	v_add_f64 v[106:107], v[106:107], v[108:109]
	v_add_f64 v[108:109], v[110:111], v[78:79]
	v_fma_f64 v[166:167], v[114:115], s[16:17], v[112:113]
	v_add_f64 v[110:111], v[122:123], v[126:127]
	v_add_f64 v[122:123], v[130:131], v[132:133]
	;; [unrolled: 1-line block ×3, first 2 shown]
	v_fma_f64 v[112:113], v[114:115], s[18:19], v[112:113]
	v_fma_f64 v[170:171], v[118:119], s[18:19], v[94:95]
	;; [unrolled: 1-line block ×3, first 2 shown]
	v_add_f64 v[126:127], v[158:159], v[70:71]
	v_fma_f64 v[172:173], v[162:163], s[16:17], v[134:135]
	v_add_f64 v[132:133], v[174:175], v[176:177]
	v_fma_f64 v[174:175], v[168:169], s[18:19], v[96:97]
	v_fma_f64 v[96:97], v[168:169], s[16:17], v[96:97]
	;; [unrolled: 1-line block ×3, first 2 shown]
	v_add_f64 v[158:159], v[178:179], v[30:31]
	v_fma_f64 v[176:177], v[180:181], s[16:17], v[102:103]
	v_add_f64 v[186:187], v[30:31], -v[46:47]
	v_add_f64 v[128:129], v[66:67], -v[74:75]
	v_fma_f64 v[178:179], v[182:183], s[18:19], v[98:99]
	v_fma_f64 v[98:99], v[182:183], s[16:17], v[98:99]
	;; [unrolled: 1-line block ×3, first 2 shown]
	v_add_f64 v[18:19], v[18:19], v[120:121]
	v_fma_f64 v[160:161], v[44:45], s[8:9], v[160:161]
	v_fma_f64 v[164:165], v[42:43], s[8:9], v[164:165]
	;; [unrolled: 1-line block ×3, first 2 shown]
	v_add_f64 v[104:105], v[184:185], v[104:105]
	v_fma_f64 v[184:185], v[44:45], s[14:15], v[40:41]
	v_add_f64 v[108:109], v[108:109], v[82:83]
	v_fma_f64 v[92:93], v[118:119], s[8:9], v[166:167]
	v_fma_f64 v[112:113], v[118:119], s[14:15], v[112:113]
	;; [unrolled: 1-line block ×4, first 2 shown]
	v_add_f64 v[126:127], v[126:127], v[72:73]
	v_fma_f64 v[114:115], v[168:169], s[8:9], v[172:173]
	v_fma_f64 v[166:167], v[162:163], s[8:9], v[174:175]
	;; [unrolled: 1-line block ×4, first 2 shown]
	v_add_f64 v[158:159], v[158:159], v[66:67]
	v_fma_f64 v[162:163], v[182:183], s[8:9], v[176:177]
	v_add_f64 v[128:129], v[186:187], v[128:129]
	v_fma_f64 v[168:169], v[180:181], s[8:9], v[178:179]
	v_fma_f64 v[98:99], v[180:181], s[14:15], v[98:99]
	;; [unrolled: 1-line block ×4, first 2 shown]
	v_fma_f64 v[44:45], v[140:141], v[150:151], -v[202:203]
	v_add_f64 v[14:15], v[18:19], v[124:125]
	v_fma_f64 v[140:141], v[100:101], s[6:7], v[160:161]
	v_fma_f64 v[154:155], v[106:107], s[6:7], v[164:165]
	;; [unrolled: 1-line block ×5, first 2 shown]
	v_add_f64 v[18:19], v[108:109], v[86:87]
	v_fma_f64 v[156:157], v[110:111], s[6:7], v[92:93]
	v_fma_f64 v[110:111], v[110:111], s[6:7], v[112:113]
	v_fma_f64 v[112:113], v[122:123], s[6:7], v[118:119]
	v_fma_f64 v[94:95], v[122:123], s[6:7], v[94:95]
	v_add_f64 v[108:109], v[126:127], v[76:77]
	v_fma_f64 v[114:115], v[130:131], s[6:7], v[114:115]
	v_fma_f64 v[122:123], v[132:133], s[6:7], v[166:167]
	v_fma_f64 v[96:97], v[132:133], s[6:7], v[96:97]
	v_fma_f64 v[118:119], v[130:131], s[6:7], v[134:135]
	;; [unrolled: 5-line block ×3, first 2 shown]
	v_lshlrev_b32_sdwa v51, v234, v232 dst_sel:DWORD dst_unused:UNUSED_PAD src0_sel:DWORD src1_sel:BYTE_0
	v_lshlrev_b32_sdwa v104, v234, v233 dst_sel:DWORD dst_unused:UNUSED_PAD src0_sel:DWORD src1_sel:BYTE_0
	v_add3_u32 v92, 0, v235, v239
	v_add3_u32 v50, 0, v236, v240
	;; [unrolled: 1-line block ×4, first 2 shown]
	ds_write2_b64 v92, v[14:15], v[140:141] offset1:11
	ds_write2_b64 v92, v[154:155], v[106:107] offset0:22 offset1:33
	ds_write_b64 v92, v[100:101] offset:352
	ds_write2_b64 v50, v[18:19], v[156:157] offset1:11
	ds_write2_b64 v50, v[112:113], v[94:95] offset0:22 offset1:33
	ds_write_b64 v50, v[110:111] offset:352
	;; [unrolled: 3-line block ×4, first 2 shown]
	s_and_saveexec_b32 s1, s0
	s_cbranch_execz .LBB0_25
; %bb.24:
	v_add_f64 v[18:19], v[58:59], v[60:61]
	v_add_f64 v[14:15], v[56:57], v[44:45]
	v_add_f64 v[96:97], v[54:55], -v[42:43]
	v_add_f64 v[98:99], v[80:81], v[56:57]
	v_add_f64 v[94:95], v[52:53], -v[40:41]
	v_add_f64 v[100:101], v[60:61], -v[44:45]
	;; [unrolled: 1-line block ×4, first 2 shown]
	v_fma_f64 v[18:19], v[18:19], -0.5, v[80:81]
	v_fma_f64 v[14:15], v[14:15], -0.5, v[80:81]
	v_add_f64 v[80:81], v[58:59], -v[56:57]
	v_add_f64 v[98:99], v[98:99], v[58:59]
	v_fma_f64 v[108:109], v[96:97], s[16:17], v[18:19]
	v_fma_f64 v[106:107], v[94:95], s[16:17], v[14:15]
	;; [unrolled: 1-line block ×4, first 2 shown]
	v_add_f64 v[80:81], v[80:81], v[100:101]
	v_add_f64 v[100:101], v[102:103], v[104:105]
	;; [unrolled: 1-line block ×3, first 2 shown]
	v_fma_f64 v[104:105], v[94:95], s[8:9], v[108:109]
	v_fma_f64 v[102:103], v[96:97], s[14:15], v[106:107]
	;; [unrolled: 1-line block ×4, first 2 shown]
	v_add_f64 v[94:95], v[98:99], v[44:45]
	v_fma_f64 v[98:99], v[100:101], s[6:7], v[104:105]
	v_fma_f64 v[96:97], v[80:81], s[6:7], v[102:103]
	;; [unrolled: 1-line block ×4, first 2 shown]
	v_add_nc_u32_e32 v80, 0x2000, v149
	ds_write2_b64 v80, v[94:95], v[98:99] offset0:76 offset1:87
	ds_write2_b64 v80, v[14:15], v[96:97] offset0:98 offset1:109
	ds_write_b64 v149, v[18:19] offset:9152
.LBB0_25:
	s_or_b32 exec_lo, exec_lo, s1
	v_add_f64 v[98:99], v[34:35], v[32:33]
	v_add_f64 v[102:103], v[64:65], v[10:11]
	;; [unrolled: 1-line block ×5, first 2 shown]
	v_add_f64 v[84:85], v[84:85], -v[86:87]
	v_add_f64 v[86:87], v[28:29], v[20:21]
	v_add_f64 v[78:79], v[78:79], -v[82:83]
	v_add_f64 v[82:83], v[38:39], v[12:13]
	v_add_f64 v[110:111], v[26:27], v[22:23]
	;; [unrolled: 1-line block ×3, first 2 shown]
	v_add_f64 v[96:97], v[88:89], -v[62:63]
	v_add_f64 v[100:101], v[8:9], -v[36:37]
	;; [unrolled: 1-line block ×4, first 2 shown]
	v_add_f64 v[106:107], v[2:3], v[64:65]
	v_add_f64 v[68:69], v[68:69], -v[76:77]
	v_add_f64 v[90:91], v[90:91], -v[124:125]
	;; [unrolled: 1-line block ×3, first 2 shown]
	v_add_f64 v[116:117], v[4:5], v[38:39]
	v_add_f64 v[70:71], v[70:71], -v[72:73]
	v_add_f64 v[46:47], v[46:47], -v[74:75]
	v_fma_f64 v[76:77], v[98:99], -0.5, v[2:3]
	v_fma_f64 v[2:3], v[102:103], -0.5, v[2:3]
	;; [unrolled: 1-line block ×4, first 2 shown]
	v_add_f64 v[102:103], v[6:7], v[24:25]
	v_add_f64 v[62:63], v[80:81], v[62:63]
	v_fma_f64 v[80:81], v[86:87], -0.5, v[4:5]
	v_add_f64 v[30:31], v[30:31], -v[66:67]
	v_fma_f64 v[4:5], v[82:83], -0.5, v[4:5]
	v_fma_f64 v[66:67], v[110:111], -0.5, v[6:7]
	;; [unrolled: 1-line block ×3, first 2 shown]
	v_add_f64 v[108:109], v[64:65], -v[34:35]
	v_add_f64 v[64:65], v[34:35], -v[64:65]
	;; [unrolled: 1-line block ×3, first 2 shown]
	v_add_f64 v[96:97], v[96:97], v[100:101]
	v_add_f64 v[88:89], v[88:89], v[104:105]
	;; [unrolled: 1-line block ×3, first 2 shown]
	v_add_f64 v[112:113], v[10:11], -v[32:33]
	v_add_f64 v[72:73], v[38:39], -v[28:29]
	v_add_f64 v[98:99], v[12:13], -v[20:21]
	v_add_f64 v[38:39], v[28:29], -v[38:39]
	v_add_f64 v[118:119], v[20:21], -v[12:13]
	v_fma_f64 v[100:101], v[84:85], s[18:19], v[76:77]
	v_fma_f64 v[76:77], v[84:85], s[16:17], v[76:77]
	;; [unrolled: 1-line block ×7, first 2 shown]
	v_add_f64 v[74:75], v[24:25], -v[26:27]
	v_add_f64 v[110:111], v[16:17], -v[22:23]
	v_add_f64 v[28:29], v[116:117], v[28:29]
	v_add_f64 v[102:103], v[102:103], v[26:27]
	v_fma_f64 v[2:3], v[78:79], s[18:19], v[2:3]
	v_add_f64 v[36:37], v[62:63], v[36:37]
	v_fma_f64 v[62:63], v[68:69], s[18:19], v[80:81]
	v_fma_f64 v[80:81], v[68:69], s[16:17], v[80:81]
	;; [unrolled: 1-line block ×7, first 2 shown]
	v_add_f64 v[24:25], v[26:27], -v[24:25]
	v_add_f64 v[26:27], v[22:23], -v[16:17]
	v_fma_f64 v[6:7], v[30:31], s[18:19], v[6:7]
	v_add_f64 v[32:33], v[34:35], v[32:33]
	v_fma_f64 v[34:35], v[78:79], s[14:15], v[100:101]
	v_fma_f64 v[76:77], v[78:79], s[8:9], v[76:77]
	;; [unrolled: 1-line block ×3, first 2 shown]
	v_add_f64 v[18:19], v[64:65], v[18:19]
	v_fma_f64 v[82:83], v[94:95], s[14:15], v[82:83]
	v_fma_f64 v[14:15], v[94:95], s[8:9], v[14:15]
	;; [unrolled: 1-line block ×4, first 2 shown]
	v_add_f64 v[90:91], v[108:109], v[112:113]
	v_fma_f64 v[2:3], v[84:85], s[8:9], v[2:3]
	v_add_f64 v[20:21], v[28:29], v[20:21]
	v_fma_f64 v[28:29], v[70:71], s[14:15], v[62:63]
	;; [unrolled: 2-line block ×3, first 2 shown]
	v_fma_f64 v[70:71], v[68:69], s[14:15], v[106:107]
	v_add_f64 v[38:39], v[38:39], v[118:119]
	v_fma_f64 v[4:5], v[68:69], s[8:9], v[4:5]
	v_add_f64 v[22:23], v[102:103], v[22:23]
	v_fma_f64 v[68:69], v[30:31], s[14:15], v[114:115]
	v_add_f64 v[72:73], v[74:75], v[110:111]
	v_fma_f64 v[30:31], v[30:31], s[8:9], v[66:67]
	v_fma_f64 v[66:67], v[46:47], s[14:15], v[116:117]
	v_add_f64 v[24:25], v[24:25], v[26:27]
	v_fma_f64 v[6:7], v[46:47], s[8:9], v[6:7]
	v_lshl_add_u32 v108, v142, 3, 0
	v_fma_f64 v[98:99], v[18:19], s[6:7], v[78:79]
	v_add_nc_u32_e32 v78, 0x1800, v143
	v_add_nc_u32_e32 v75, 0x400, v143
	v_fma_f64 v[81:82], v[96:97], s[6:7], v[82:83]
	v_fma_f64 v[83:84], v[96:97], s[6:7], v[14:15]
	v_fma_f64 v[85:86], v[88:89], s[6:7], v[86:87]
	v_fma_f64 v[87:88], v[88:89], s[6:7], v[0:1]
	v_fma_f64 v[96:97], v[90:91], s[6:7], v[34:35]
	v_fma_f64 v[89:90], v[90:91], s[6:7], v[76:77]
	v_add_nc_u32_e32 v77, 0xc00, v143
	v_add_nc_u32_e32 v76, 0x800, v143
	;; [unrolled: 1-line block ×5, first 2 shown]
	v_add_f64 v[46:47], v[36:37], v[8:9]
	v_add_f64 v[94:95], v[32:33], v[10:11]
	v_fma_f64 v[100:101], v[18:19], s[6:7], v[2:3]
	v_add_f64 v[102:103], v[20:21], v[12:13]
	v_fma_f64 v[104:105], v[62:63], s[6:7], v[28:29]
	v_fma_f64 v[62:63], v[62:63], s[6:7], v[64:65]
	;; [unrolled: 1-line block ×4, first 2 shown]
	v_add_f64 v[106:107], v[22:23], v[16:17]
	v_fma_f64 v[68:69], v[72:73], s[6:7], v[68:69]
	v_fma_f64 v[109:110], v[72:73], s[6:7], v[30:31]
	v_fma_f64 v[66:67], v[24:25], s[6:7], v[66:67]
	v_fma_f64 v[111:112], v[24:25], s[6:7], v[6:7]
	s_waitcnt lgkmcnt(0)
	s_barrier
	buffer_gl0_inv
	ds_read2_b64 v[4:7], v143 offset1:55
	ds_read2_b64 v[0:3], v143 offset0:110 offset1:165
	ds_read_b64 v[72:73], v108 offset:2640
	ds_read2_b64 v[36:39], v77 offset0:111 offset1:166
	ds_read2_b64 v[8:11], v74 offset0:93 offset1:148
	;; [unrolled: 1-line block ×8, first 2 shown]
	s_waitcnt lgkmcnt(0)
	s_barrier
	buffer_gl0_inv
	ds_write2_b64 v92, v[46:47], v[81:82] offset1:11
	ds_write2_b64 v92, v[85:86], v[87:88] offset0:22 offset1:33
	ds_write_b64 v92, v[83:84] offset:352
	ds_write2_b64 v50, v[94:95], v[96:97] offset1:11
	ds_write2_b64 v50, v[98:99], v[100:101] offset0:22 offset1:33
	ds_write_b64 v50, v[89:90] offset:352
	ds_write2_b64 v93, v[102:103], v[104:105] offset1:11
	ds_write2_b64 v93, v[64:65], v[70:71] offset0:22 offset1:33
	ds_write_b64 v93, v[62:63] offset:352
	ds_write2_b64 v51, v[106:107], v[68:69] offset1:11
	ds_write2_b64 v51, v[66:67], v[111:112] offset0:22 offset1:33
	ds_write_b64 v51, v[109:110] offset:352
	s_and_saveexec_b32 s1, s0
	s_cbranch_execz .LBB0_27
; %bb.26:
	v_add_f64 v[46:47], v[52:53], v[40:41]
	v_add_f64 v[50:51], v[54:55], v[42:43]
	;; [unrolled: 1-line block ×3, first 2 shown]
	v_add_f64 v[44:45], v[56:57], -v[44:45]
	v_add_f64 v[56:57], v[58:59], -v[60:61]
	s_mov_b32 s6, 0x134454ff
	s_mov_b32 s7, 0xbfee6f0e
	;; [unrolled: 1-line block ×4, first 2 shown]
	v_add_f64 v[58:59], v[42:43], -v[40:41]
	v_add_f64 v[60:61], v[40:41], -v[42:43]
	v_fma_f64 v[46:47], v[46:47], -0.5, v[48:49]
	v_fma_f64 v[48:49], v[50:51], -0.5, v[48:49]
	v_add_f64 v[50:51], v[54:55], -v[52:53]
	v_add_f64 v[54:55], v[52:53], -v[54:55]
	v_add_f64 v[52:53], v[62:63], v[52:53]
	v_fma_f64 v[62:63], v[44:45], s[6:7], v[46:47]
	v_fma_f64 v[64:65], v[56:57], s[8:9], v[48:49]
	;; [unrolled: 1-line block ×4, first 2 shown]
	s_mov_b32 s6, 0x4755a5e
	s_mov_b32 s7, 0xbfe2cf23
	;; [unrolled: 1-line block ×4, first 2 shown]
	v_add_f64 v[50:51], v[50:51], v[58:59]
	v_add_f64 v[40:41], v[52:53], v[40:41]
	;; [unrolled: 1-line block ×3, first 2 shown]
	v_fma_f64 v[52:53], v[56:57], s[6:7], v[62:63]
	v_fma_f64 v[58:59], v[44:45], s[6:7], v[64:65]
	;; [unrolled: 1-line block ×4, first 2 shown]
	s_mov_b32 s6, 0x372fe950
	s_mov_b32 s7, 0x3fd3c6ef
	v_add_f64 v[40:41], v[40:41], v[42:43]
	v_fma_f64 v[42:43], v[50:51], s[6:7], v[52:53]
	v_fma_f64 v[48:49], v[54:55], s[6:7], v[58:59]
	;; [unrolled: 1-line block ×4, first 2 shown]
	v_add_nc_u32_e32 v50, 0x2000, v149
	ds_write2_b64 v50, v[40:41], v[42:43] offset0:76 offset1:87
	ds_write2_b64 v50, v[48:49], v[44:45] offset0:98 offset1:109
	ds_write_b64 v149, v[46:47] offset:9152
.LBB0_27:
	s_or_b32 exec_lo, exec_lo, s1
	v_mul_u32_u24_e32 v40, 6, v142
	s_waitcnt lgkmcnt(0)
	s_barrier
	buffer_gl0_inv
	s_mov_b32 s14, 0x37e14327
	v_lshlrev_b32_e32 v40, 4, v40
	s_mov_b32 s20, 0xe976ee23
	s_mov_b32 s15, 0x3fe948f6
	s_mov_b32 s21, 0xbfe11646
	s_mov_b32 s6, 0x36b3c0b5
	s_clause 0x5
	global_load_dwordx4 v[56:59], v40, s[12:13] offset:704
	global_load_dwordx4 v[52:55], v40, s[12:13] offset:720
	;; [unrolled: 1-line block ×6, first 2 shown]
	v_mul_lo_u16 v40, 0x95, v148
	s_mov_b32 s8, 0x429ad128
	s_mov_b32 s7, 0x3fac98ee
	;; [unrolled: 1-line block ×4, first 2 shown]
	v_lshrrev_b16 v40, 13, v40
	s_mov_b32 s22, 0xb247c609
	s_mov_b32 s19, 0x3fe77f67
	;; [unrolled: 1-line block ×4, first 2 shown]
	v_mul_lo_u16 v40, v40, 55
	s_mov_b32 s25, 0xbfd5d0dc
	s_mov_b32 s16, s18
	;; [unrolled: 1-line block ×4, first 2 shown]
	v_sub_nc_u16 v40, v145, v40
	s_mov_b32 s26, 0x37c3f68c
	s_mov_b32 s1, 0xbff2aaaa
	;; [unrolled: 1-line block ×3, first 2 shown]
	v_add_nc_u32_e32 v135, 0x400, v108
	v_and_b32_e32 v107, 0xff, v40
	v_mul_u32_u24_e32 v40, 6, v107
	v_lshl_add_u32 v107, v107, 3, 0
	v_lshlrev_b32_e32 v40, 4, v40
	v_add_nc_u32_e32 v188, 0x1800, v107
	v_add_nc_u32_e32 v189, 0x1c00, v107
	s_clause 0x5
	global_load_dwordx4 v[81:84], v40, s[12:13] offset:704
	global_load_dwordx4 v[85:88], v40, s[12:13] offset:720
	;; [unrolled: 1-line block ×6, first 2 shown]
	ds_read2_b64 v[60:63], v143 offset1:55
	ds_read2_b64 v[40:43], v143 offset0:110 offset1:165
	ds_read_b64 v[105:106], v108 offset:2640
	ds_read2_b64 v[109:112], v77 offset0:111 offset1:166
	ds_read2_b64 v[113:116], v74 offset0:93 offset1:148
	;; [unrolled: 1-line block ×8, first 2 shown]
	s_waitcnt vmcnt(0) lgkmcnt(0)
	s_barrier
	buffer_gl0_inv
	v_mul_f64 v[133:134], v[42:43], v[58:59]
	v_mul_f64 v[140:141], v[2:3], v[58:59]
	;; [unrolled: 1-line block ×24, first 2 shown]
	v_fma_f64 v[2:3], v[2:3], v[56:57], -v[133:134]
	v_fma_f64 v[42:43], v[42:43], v[56:57], v[140:141]
	v_fma_f64 v[72:73], v[72:73], v[52:53], -v[156:157]
	v_fma_f64 v[105:106], v[105:106], v[52:53], v[158:159]
	v_fma_f64 v[36:37], v[36:37], v[48:49], -v[160:161]
	v_fma_f64 v[109:110], v[109:110], v[48:49], v[162:163]
	v_fma_f64 v[10:11], v[10:11], v[44:45], -v[164:165]
	v_fma_f64 v[115:116], v[115:116], v[44:45], v[166:167]
	v_fma_f64 v[32:33], v[32:33], v[68:69], -v[168:169]
	v_fma_f64 v[117:118], v[117:118], v[68:69], v[170:171]
	v_fma_f64 v[14:15], v[14:15], v[64:65], -v[172:173]
	v_fma_f64 v[123:124], v[123:124], v[64:65], v[174:175]
	v_fma_f64 v[28:29], v[28:29], v[56:57], -v[176:177]
	v_fma_f64 v[56:57], v[125:126], v[56:57], v[58:59]
	v_fma_f64 v[24:25], v[24:25], v[52:53], -v[178:179]
	v_fma_f64 v[52:53], v[129:130], v[52:53], v[54:55]
	v_fma_f64 v[38:39], v[38:39], v[48:49], -v[180:181]
	v_fma_f64 v[48:49], v[111:112], v[48:49], v[50:51]
	v_fma_f64 v[20:21], v[20:21], v[44:45], -v[182:183]
	v_fma_f64 v[44:45], v[148:149], v[44:45], v[46:47]
	v_fma_f64 v[34:35], v[34:35], v[68:69], -v[184:185]
	v_fma_f64 v[46:47], v[119:120], v[68:69], v[70:71]
	v_fma_f64 v[16:17], v[16:17], v[64:65], -v[186:187]
	v_fma_f64 v[50:51], v[152:153], v[64:65], v[66:67]
	v_mul_f64 v[54:55], v[127:128], v[83:84]
	v_mul_f64 v[58:59], v[30:31], v[83:84]
	;; [unrolled: 1-line block ×12, first 2 shown]
	v_add_f64 v[111:112], v[2:3], v[14:15]
	v_add_f64 v[119:120], v[42:43], v[123:124]
	v_add_f64 v[2:3], v[2:3], -v[14:15]
	v_add_f64 v[14:15], v[42:43], -v[123:124]
	v_add_f64 v[42:43], v[72:73], v[32:33]
	v_add_f64 v[123:124], v[105:106], v[117:118]
	v_add_f64 v[32:33], v[72:73], -v[32:33]
	v_add_f64 v[72:73], v[105:106], -v[117:118]
	;; [unrolled: 4-line block ×6, first 2 shown]
	v_fma_f64 v[30:31], v[30:31], v[81:82], -v[54:55]
	v_fma_f64 v[44:45], v[127:128], v[81:82], v[58:59]
	v_fma_f64 v[26:27], v[26:27], v[85:86], -v[64:65]
	v_fma_f64 v[48:49], v[131:132], v[85:86], v[66:67]
	v_fma_f64 v[12:13], v[12:13], v[97:98], -v[91:92]
	v_fma_f64 v[18:19], v[18:19], v[101:102], -v[99:100]
	v_fma_f64 v[66:67], v[154:155], v[101:102], v[103:104]
	v_fma_f64 v[8:9], v[8:9], v[89:90], -v[68:69]
	v_fma_f64 v[54:55], v[113:114], v[89:90], v[70:71]
	;; [unrolled: 2-line block ×3, first 2 shown]
	v_fma_f64 v[64:65], v[121:122], v[97:98], v[95:96]
	v_add_f64 v[68:69], v[42:43], v[111:112]
	v_add_f64 v[70:71], v[123:124], v[119:120]
	v_add_f64 v[81:82], v[42:43], -v[111:112]
	v_add_f64 v[101:102], v[56:57], v[115:116]
	v_add_f64 v[83:84], v[123:124], -v[119:120]
	v_add_f64 v[85:86], v[111:112], -v[105:106]
	;; [unrolled: 1-line block ×7, first 2 shown]
	v_add_f64 v[91:92], v[10:11], v[32:33]
	v_add_f64 v[93:94], v[36:37], v[72:73]
	v_add_f64 v[95:96], v[10:11], -v[32:33]
	v_add_f64 v[97:98], v[36:37], -v[72:73]
	v_add_f64 v[125:126], v[30:31], v[18:19]
	v_add_f64 v[127:128], v[44:45], v[66:67]
	v_add_f64 v[18:19], v[30:31], -v[18:19]
	v_add_f64 v[30:31], v[44:45], -v[66:67]
	v_add_f64 v[44:45], v[26:27], v[12:13]
	v_add_f64 v[32:33], v[32:33], -v[2:3]
	v_add_f64 v[72:73], v[72:73], -v[14:15]
	;; [unrolled: 3-line block ×3, first 2 shown]
	v_add_f64 v[109:110], v[109:110], -v[46:47]
	v_add_f64 v[50:51], v[46:47], -v[50:51]
	;; [unrolled: 1-line block ×3, first 2 shown]
	v_add_f64 v[115:116], v[20:21], v[24:25]
	v_add_f64 v[119:120], v[38:39], v[34:35]
	v_add_f64 v[123:124], v[38:39], -v[34:35]
	v_add_f64 v[24:25], v[24:25], -v[16:17]
	;; [unrolled: 1-line block ×3, first 2 shown]
	v_add_f64 v[66:67], v[48:49], v[64:65]
	v_add_f64 v[12:13], v[26:27], -v[12:13]
	v_add_f64 v[26:27], v[48:49], -v[64:65]
	v_add_f64 v[48:49], v[8:9], v[22:23]
	v_add_f64 v[8:9], v[22:23], -v[8:9]
	v_add_f64 v[22:23], v[58:59], -v[54:55]
	v_add_f64 v[52:53], v[52:53], v[101:102]
	v_mul_f64 v[101:102], v[113:114], s[14:15]
	v_mul_f64 v[113:114], v[121:122], s[20:21]
	v_add_f64 v[121:122], v[44:45], v[125:126]
	v_add_f64 v[10:11], v[2:3], -v[10:11]
	v_add_f64 v[36:37], v[14:15], -v[36:37]
	v_add_f64 v[20:21], v[16:17], -v[20:21]
	v_add_f64 v[38:39], v[28:29], -v[38:39]
	v_add_f64 v[64:65], v[54:55], v[58:59]
	v_add_f64 v[54:55], v[105:106], v[68:69]
	;; [unrolled: 1-line block ×5, first 2 shown]
	v_mul_f64 v[68:69], v[85:86], s[14:15]
	v_mul_f64 v[70:71], v[87:88], s[14:15]
	;; [unrolled: 1-line block ×8, first 2 shown]
	v_add_f64 v[46:47], v[46:47], v[99:100]
	v_add_f64 v[16:17], v[115:116], v[16:17]
	;; [unrolled: 1-line block ×3, first 2 shown]
	v_mul_f64 v[99:100], v[109:110], s[14:15]
	v_mul_f64 v[105:106], v[50:51], s[6:7]
	;; [unrolled: 1-line block ×5, first 2 shown]
	v_add_f64 v[123:124], v[66:67], v[127:128]
	v_add_f64 v[129:130], v[44:45], -v[125:126]
	v_add_f64 v[125:126], v[125:126], -v[48:49]
	;; [unrolled: 1-line block ×4, first 2 shown]
	v_add_f64 v[48:49], v[48:49], v[121:122]
	v_mul_f64 v[109:110], v[56:57], s[6:7]
	v_add_f64 v[133:134], v[8:9], v[12:13]
	v_add_f64 v[140:141], v[22:23], v[26:27]
	v_add_f64 v[148:149], v[8:9], -v[12:13]
	v_add_f64 v[12:13], v[12:13], -v[18:19]
	v_add_f64 v[26:27], v[26:27], -v[30:31]
	v_add_f64 v[131:132], v[66:67], -v[127:128]
	v_add_f64 v[127:128], v[127:128], -v[64:65]
	v_add_f64 v[66:67], v[64:65], -v[66:67]
	v_add_f64 v[22:23], v[30:31], -v[22:23]
	v_add_f64 v[4:5], v[4:5], v[54:55]
	v_add_f64 v[60:61], v[60:61], v[58:59]
	v_fma_f64 v[42:43], v[42:43], s[6:7], v[68:69]
	v_fma_f64 v[89:90], v[89:90], s[6:7], v[70:71]
	v_fma_f64 v[85:86], v[81:82], s[18:19], -v[85:86]
	v_fma_f64 v[87:88], v[83:84], s[18:19], -v[87:88]
	;; [unrolled: 1-line block ×4, first 2 shown]
	v_fma_f64 v[81:82], v[10:11], s[22:23], v[91:92]
	v_fma_f64 v[83:84], v[36:37], s[22:23], v[93:94]
	v_fma_f64 v[32:33], v[32:33], s[8:9], -v[91:92]
	v_fma_f64 v[72:73], v[72:73], s[8:9], -v[93:94]
	;; [unrolled: 1-line block ×4, first 2 shown]
	v_add_f64 v[6:7], v[6:7], v[46:47]
	v_add_f64 v[62:63], v[62:63], v[52:53]
	v_fma_f64 v[50:51], v[50:51], s[6:7], v[99:100]
	v_fma_f64 v[56:57], v[56:57], s[6:7], v[101:102]
	v_fma_f64 v[91:92], v[103:104], s[18:19], -v[105:106]
	v_fma_f64 v[95:96], v[103:104], s[16:17], -v[99:100]
	;; [unrolled: 1-line block ×3, first 2 shown]
	v_fma_f64 v[99:100], v[20:21], s[22:23], v[113:114]
	v_fma_f64 v[101:102], v[38:39], s[22:23], v[115:116]
	v_fma_f64 v[24:25], v[24:25], s[8:9], -v[113:114]
	v_fma_f64 v[34:35], v[34:35], s[8:9], -v[115:116]
	;; [unrolled: 1-line block ×4, first 2 shown]
	v_add_f64 v[64:65], v[64:65], v[123:124]
	v_mul_f64 v[103:104], v[125:126], s[14:15]
	v_mul_f64 v[115:116], v[150:151], s[20:21]
	v_add_f64 v[0:1], v[0:1], v[48:49]
	v_add_f64 v[8:9], v[18:19], -v[8:9]
	v_fma_f64 v[93:94], v[111:112], s[18:19], -v[109:110]
	v_mul_f64 v[109:110], v[44:45], s[6:7]
	v_mul_f64 v[113:114], v[148:149], s[20:21]
	;; [unrolled: 1-line block ×4, first 2 shown]
	v_add_f64 v[30:31], v[140:141], v[30:31]
	v_mul_f64 v[105:106], v[127:128], s[14:15]
	v_mul_f64 v[111:112], v[66:67], s[6:7]
	v_fma_f64 v[54:55], v[54:55], s[0:1], v[4:5]
	v_fma_f64 v[58:59], v[58:59], s[0:1], v[60:61]
	;; [unrolled: 1-line block ×16, first 2 shown]
	v_add_f64 v[40:41], v[40:41], v[64:65]
	v_fma_f64 v[28:29], v[44:45], s[6:7], v[103:104]
	v_fma_f64 v[101:102], v[22:23], s[22:23], v[115:116]
	;; [unrolled: 1-line block ×3, first 2 shown]
	v_add_f64 v[18:19], v[133:134], v[18:19]
	v_fma_f64 v[44:45], v[129:130], s[18:19], -v[109:110]
	v_fma_f64 v[99:100], v[8:9], s[22:23], v[113:114]
	v_fma_f64 v[12:13], v[12:13], s[8:9], -v[113:114]
	v_fma_f64 v[26:27], v[26:27], s[8:9], -v[115:116]
	;; [unrolled: 1-line block ×5, first 2 shown]
	v_fma_f64 v[38:39], v[66:67], s[6:7], v[105:106]
	v_fma_f64 v[66:67], v[131:132], s[18:19], -v[111:112]
	v_add_f64 v[42:43], v[42:43], v[54:55]
	v_add_f64 v[89:90], v[89:90], v[58:59]
	v_add_f64 v[68:69], v[68:69], v[54:55]
	v_fma_f64 v[105:106], v[131:132], s[16:17], -v[105:106]
	v_add_f64 v[70:71], v[70:71], v[58:59]
	v_add_f64 v[54:55], v[85:86], v[54:55]
	;; [unrolled: 1-line block ×7, first 2 shown]
	v_fma_f64 v[64:65], v[64:65], s[0:1], v[40:41]
	v_fma_f64 v[93:94], v[30:31], s[26:27], v[101:102]
	v_add_f64 v[28:29], v[28:29], v[48:49]
	v_add_f64 v[56:57], v[56:57], v[36:37]
	;; [unrolled: 1-line block ×3, first 2 shown]
	v_fma_f64 v[91:92], v[18:19], s[26:27], v[99:100]
	v_fma_f64 v[12:13], v[18:19], s[26:27], v[12:13]
	;; [unrolled: 1-line block ×5, first 2 shown]
	v_add_f64 v[97:98], v[103:104], v[48:49]
	v_add_f64 v[44:45], v[44:45], v[48:49]
	;; [unrolled: 1-line block ×4, first 2 shown]
	v_add_f64 v[10:11], v[68:69], -v[10:11]
	v_add_f64 v[48:49], v[70:71], -v[2:3]
	v_add_f64 v[68:69], v[2:3], v[70:71]
	v_add_f64 v[101:102], v[32:33], v[58:59]
	v_add_f64 v[58:59], v[58:59], -v[32:33]
	v_add_f64 v[32:33], v[52:53], v[50:51]
	v_add_f64 v[95:96], v[89:90], -v[81:82]
	;; [unrolled: 2-line block ×3, first 2 shown]
	v_add_f64 v[20:21], v[50:51], -v[52:53]
	v_add_f64 v[38:39], v[38:39], v[64:65]
	v_add_f64 v[50:51], v[105:106], v[64:65]
	;; [unrolled: 1-line block ×4, first 2 shown]
	v_add_f64 v[99:100], v[54:55], -v[72:73]
	v_add_f64 v[2:3], v[42:43], -v[83:84]
	v_add_f64 v[42:43], v[81:82], v[89:90]
	v_add_f64 v[54:55], v[72:73], v[54:55]
	;; [unrolled: 1-line block ×3, first 2 shown]
	v_add_f64 v[83:84], v[44:45], -v[26:27]
	v_add_f64 v[26:27], v[26:27], v[44:45]
	v_add_f64 v[18:19], v[97:98], -v[18:19]
	v_add_f64 v[28:29], v[28:29], -v[93:94]
	v_add_f64 v[72:73], v[85:86], -v[34:35]
	v_add_f64 v[34:35], v[34:35], v[85:86]
	v_add_f64 v[64:65], v[56:57], -v[46:47]
	v_add_f64 v[44:45], v[36:37], -v[16:17]
	v_add_f64 v[85:86], v[24:25], v[87:88]
	v_add_f64 v[87:88], v[87:88], -v[24:25]
	v_add_f64 v[89:90], v[16:17], v[36:37]
	v_add_f64 v[46:47], v[46:47], v[56:57]
	ds_write2_b64 v143, v[4:5], v[22:23] offset1:55
	ds_write2_b64 v143, v[30:31], v[99:100] offset0:110 offset1:165
	ds_write2_b64 v75, v[54:55], v[10:11] offset0:92 offset1:147
	;; [unrolled: 1-line block ×6, first 2 shown]
	v_add_f64 v[54:55], v[38:39], -v[91:92]
	v_add_f64 v[56:57], v[50:51], -v[8:9]
	v_add_f64 v[70:71], v[12:13], v[52:53]
	v_add_f64 v[52:53], v[52:53], -v[12:13]
	v_add_f64 v[50:51], v[8:9], v[50:51]
	v_add_f64 v[72:73], v[91:92], v[38:39]
	ds_write2_b64 v188, v[0:1], v[66:67] offset0:2 offset1:57
	ds_write2_b64 v188, v[81:82], v[83:84] offset0:112 offset1:167
	;; [unrolled: 1-line block ×3, first 2 shown]
	ds_write_b64 v107, v[28:29] offset:8800
	s_waitcnt lgkmcnt(0)
	s_barrier
	buffer_gl0_inv
	ds_read2_b64 v[4:7], v143 offset1:55
	ds_read2_b64 v[12:15], v76 offset0:129 offset1:184
	ds_read2_b64 v[36:39], v80 offset0:75 offset1:130
	;; [unrolled: 1-line block ×9, first 2 shown]
	ds_read_b64 v[104:105], v108 offset:2640
	s_waitcnt lgkmcnt(0)
	s_barrier
	buffer_gl0_inv
	ds_write2_b64 v143, v[60:61], v[95:96] offset1:55
	ds_write2_b64 v143, v[48:49], v[101:102] offset0:110 offset1:165
	ds_write2_b64 v75, v[58:59], v[68:69] offset0:92 offset1:147
	;; [unrolled: 1-line block ×9, first 2 shown]
	ds_write_b64 v107, v[72:73] offset:8800
	s_waitcnt lgkmcnt(0)
	s_barrier
	buffer_gl0_inv
	s_and_saveexec_b32 s0, vcc_lo
	s_cbranch_execz .LBB0_29
; %bb.28:
	v_lshlrev_b32_e32 v56, 1, v142
	v_mov_b32_e32 v58, 0
	v_add_nc_u32_e32 v148, 0x6e, v142
	v_mul_lo_u32 v139, s4, v139
	v_mad_u64_u32 v[140:141], null, s4, v138, 0
	v_add_nc_u32_e32 v57, 0x294, v56
	v_add_nc_u32_e32 v149, 0xa5, v142
	;; [unrolled: 1-line block ×3, first 2 shown]
	v_mul_hi_u32 v152, 0x551c979b, v148
	v_add_nc_u32_e32 v109, 0x1400, v143
	v_lshlrev_b64 v[40:41], 4, v[57:58]
	v_add_nc_u32_e32 v57, 0x226, v56
	v_mul_hi_u32 v153, 0x551c979b, v149
	v_add_nc_u32_e32 v112, 0x2000, v143
	v_add_nc_u32_e32 v116, 0x1000, v143
	;; [unrolled: 1-line block ×3, first 2 shown]
	v_add_co_u32 v44, vcc_lo, s12, v40
	v_lshlrev_b64 v[42:43], 4, v[57:58]
	v_add_co_ci_u32_e32 v45, vcc_lo, s13, v41, vcc_lo
	v_add_co_u32 v40, vcc_lo, 0x1760, v44
	v_lshlrev_b32_e32 v57, 1, v146
	v_add_co_ci_u32_e32 v41, vcc_lo, 0, v45, vcc_lo
	v_add_co_u32 v46, vcc_lo, s12, v42
	v_add_co_ci_u32_e32 v47, vcc_lo, s13, v43, vcc_lo
	v_add_co_u32 v42, vcc_lo, 0x1000, v44
	;; [unrolled: 2-line block ×3, first 2 shown]
	v_lshlrev_b64 v[59:60], 4, v[57:58]
	v_add_co_ci_u32_e32 v45, vcc_lo, 0, v47, vcc_lo
	v_add_co_u32 v46, vcc_lo, 0x1760, v46
	v_lshlrev_b32_e32 v57, 1, v147
	v_add_co_ci_u32_e32 v47, vcc_lo, 0, v47, vcc_lo
	v_add_co_u32 v63, vcc_lo, s12, v59
	v_add_co_ci_u32_e32 v64, vcc_lo, s13, v60, vcc_lo
	v_lshlrev_b64 v[59:60], 4, v[57:58]
	v_add_co_u32 v61, vcc_lo, 0x1760, v63
	v_add_co_ci_u32_e32 v62, vcc_lo, 0, v64, vcc_lo
	v_mov_b32_e32 v57, v58
	v_add_co_u32 v65, vcc_lo, s12, v59
	v_add_co_ci_u32_e32 v66, vcc_lo, s13, v60, vcc_lo
	v_add_co_u32 v59, vcc_lo, 0x1000, v63
	v_add_co_ci_u32_e32 v60, vcc_lo, 0, v64, vcc_lo
	v_add_co_u32 v63, vcc_lo, 0x1000, v65
	v_lshlrev_b64 v[80:81], 4, v[56:57]
	v_add_co_ci_u32_e32 v64, vcc_lo, 0, v66, vcc_lo
	v_add_co_u32 v68, vcc_lo, 0x1760, v65
	v_add_co_ci_u32_e32 v69, vcc_lo, 0, v66, vcc_lo
	s_clause 0x7
	global_load_dwordx4 v[48:51], v[42:43], off offset:1888
	global_load_dwordx4 v[52:55], v[40:41], off offset:16
	;; [unrolled: 1-line block ×8, first 2 shown]
	v_lshlrev_b32_e32 v57, 1, v145
	v_add_co_u32 v61, vcc_lo, s12, v80
	v_add_co_ci_u32_e32 v62, vcc_lo, s13, v81, vcc_lo
	v_lshlrev_b64 v[56:57], 4, v[57:58]
	v_add_co_u32 v59, vcc_lo, 0x1760, v61
	v_add_co_ci_u32_e32 v60, vcc_lo, 0, v62, vcc_lo
	v_add_co_u32 v61, vcc_lo, 0x1000, v61
	v_add_co_ci_u32_e32 v62, vcc_lo, 0, v62, vcc_lo
	;; [unrolled: 2-line block ×3, first 2 shown]
	v_lshlrev_b32_e32 v57, 1, v144
	s_clause 0x1
	global_load_dwordx4 v[96:99], v[61:62], off offset:1888
	global_load_dwordx4 v[100:103], v[59:60], off offset:16
	v_add_co_u32 v59, vcc_lo, 0x1760, v63
	v_add_co_ci_u32_e32 v60, vcc_lo, 0, v80, vcc_lo
	v_lshlrev_b64 v[56:57], 4, v[57:58]
	v_add_co_u32 v61, vcc_lo, 0x1000, v63
	v_add_co_ci_u32_e32 v62, vcc_lo, 0, v80, vcc_lo
	s_clause 0x1
	global_load_dwordx4 v[88:91], v[61:62], off offset:1888
	global_load_dwordx4 v[92:95], v[59:60], off offset:16
	v_add_co_u32 v58, vcc_lo, s12, v56
	v_add_co_ci_u32_e32 v63, vcc_lo, s13, v57, vcc_lo
	v_mul_hi_u32 v146, 0x551c979b, v142
	v_add_co_u32 v56, vcc_lo, 0x1000, v58
	v_add_co_ci_u32_e32 v57, vcc_lo, 0, v63, vcc_lo
	v_add_co_u32 v58, vcc_lo, 0x1760, v58
	v_add_co_ci_u32_e32 v59, vcc_lo, 0, v63, vcc_lo
	s_clause 0x1
	global_load_dwordx4 v[80:83], v[56:57], off offset:1888
	global_load_dwordx4 v[84:87], v[58:59], off offset:16
	v_add_nc_u32_e32 v147, 55, v142
	v_mul_lo_u32 v145, s5, v138
	v_lshrrev_b32_e32 v146, 7, v146
	v_lshrrev_b32_e32 v152, 7, v152
	v_lshrrev_b32_e32 v153, 7, v153
	v_mul_hi_u32 v151, 0x551c979b, v147
	v_add_nc_u32_e32 v128, 0xc00, v143
	v_mul_u32_u24_e32 v146, 0x181, v146
	ds_read2_b64 v[56:59], v143 offset0:110 offset1:165
	v_add3_u32 v141, v141, v139, v145
	v_mul_hi_u32 v145, 0x551c979b, v150
	v_add_nc_u32_e32 v138, 0x800, v143
	v_sub_nc_u32_e32 v155, v142, v146
	v_lshrrev_b32_e32 v151, 7, v151
	v_lshlrev_b64 v[140:141], 4, v[140:141]
	v_mul_u32_u24_e32 v146, 0x181, v152
	ds_read2_b64 v[60:63], v143 offset1:55
	v_lshlrev_b64 v[143:144], 4, v[136:137]
	v_lshrrev_b32_e32 v154, 7, v145
	v_mul_u32_u24_e32 v145, 0x181, v151
	v_mul_u32_u24_e32 v156, 0x181, v153
	v_add_co_u32 v158, vcc_lo, s10, v140
	v_mul_u32_u24_e32 v157, 0x181, v154
	v_add_co_ci_u32_e32 v159, vcc_lo, s11, v141, vcc_lo
	v_add_nc_u32_e32 v168, 0x181, v155
	v_add_nc_u32_e32 v170, 0x302, v155
	v_sub_nc_u32_e32 v147, v147, v145
	v_sub_nc_u32_e32 v148, v148, v146
	;; [unrolled: 1-line block ×3, first 2 shown]
	v_add_co_u32 v195, vcc_lo, v158, v143
	v_mad_u64_u32 v[140:141], null, s2, v155, 0
	v_sub_nc_u32_e32 v150, v150, v157
	v_add_co_ci_u32_e32 v196, vcc_lo, v159, v144, vcc_lo
	v_mad_u64_u32 v[143:144], null, s2, v168, 0
	v_mad_u64_u32 v[145:146], null, s2, v170, 0
	v_mad_u32_u24 v171, 0x483, v151, v147
	v_mad_u32_u24 v172, 0x483, v152, v148
	;; [unrolled: 1-line block ×4, first 2 shown]
	v_mad_u64_u32 v[155:156], null, s3, v155, v[141:142]
	v_mad_u64_u32 v[147:148], null, s2, v171, 0
	v_add_nc_u32_e32 v174, 0x181, v171
	v_add_nc_u32_e32 v176, 0x181, v172
	;; [unrolled: 1-line block ×3, first 2 shown]
	v_mad_u64_u32 v[149:150], null, s2, v172, 0
	v_add_nc_u32_e32 v177, 0x302, v172
	v_mad_u64_u32 v[151:152], null, s2, v173, 0
	v_add_nc_u32_e32 v178, 0x181, v173
	v_mov_b32_e32 v141, v144
	v_mov_b32_e32 v144, v146
	v_mad_u64_u32 v[153:154], null, s2, v197, 0
	v_add_nc_u32_e32 v179, 0x302, v173
	v_mad_u64_u32 v[156:157], null, s2, v174, 0
	v_mad_u64_u32 v[160:161], null, s2, v176, 0
	v_mad_u64_u32 v[158:159], null, s2, v175, 0
	v_mad_u64_u32 v[162:163], null, s2, v177, 0
	v_mad_u64_u32 v[164:165], null, s2, v178, 0
	v_mad_u64_u32 v[168:169], null, s3, v168, v[141:142]
	v_mad_u64_u32 v[169:170], null, s3, v170, v[144:145]
	v_mov_b32_e32 v144, v148
	v_mov_b32_e32 v146, v150
	v_mad_u64_u32 v[166:167], null, s2, v179, 0
	v_mov_b32_e32 v148, v152
	v_add_nc_u32_e32 v120, 0x400, v108
	v_mov_b32_e32 v150, v154
	ds_read_b64 v[106:107], v108 offset:2640
	ds_read2_b64 v[108:111], v109 offset0:75 offset1:130
	ds_read2_b64 v[112:115], v112 offset0:21 offset1:76
	;; [unrolled: 1-line block ×8, first 2 shown]
	v_mov_b32_e32 v141, v155
	v_mad_u64_u32 v[154:155], null, s3, v171, v[144:145]
	v_mov_b32_e32 v152, v157
	v_mov_b32_e32 v157, v161
	;; [unrolled: 1-line block ×3, first 2 shown]
	v_mad_u64_u32 v[170:171], null, s3, v172, v[146:147]
	v_mov_b32_e32 v159, v163
	v_mad_u64_u32 v[171:172], null, s3, v173, v[148:149]
	v_mov_b32_e32 v148, v165
	;; [unrolled: 2-line block ×3, first 2 shown]
	v_mov_b32_e32 v144, v168
	v_mad_u64_u32 v[167:168], null, s3, v174, v[152:153]
	v_mad_u64_u32 v[173:174], null, s3, v176, v[157:158]
	v_mov_b32_e32 v146, v169
	v_mad_u64_u32 v[168:169], null, s3, v175, v[155:156]
	v_mad_u64_u32 v[174:175], null, s3, v177, v[159:160]
	;; [unrolled: 1-line block ×4, first 2 shown]
	v_mov_b32_e32 v157, v167
	v_mov_b32_e32 v159, v168
	;; [unrolled: 1-line block ×7, first 2 shown]
	v_lshlrev_b64 v[154:155], 4, v[156:157]
	v_lshlrev_b64 v[156:157], 4, v[158:159]
	;; [unrolled: 1-line block ×8, first 2 shown]
	s_mov_b32 s0, 0xe8584caa
	v_lshlrev_b64 v[147:148], 4, v[147:148]
	s_mov_b32 s1, 0x3febb67a
	v_add_co_u32 v140, vcc_lo, v195, v140
	v_add_co_ci_u32_e32 v141, vcc_lo, v196, v141, vcc_lo
	v_add_co_u32 v143, vcc_lo, v195, v143
	s_mov_b32 s5, 0xbfebb67a
	s_mov_b32 s4, s0
	v_mov_b32_e32 v152, v171
	v_add_co_ci_u32_e32 v144, vcc_lo, v196, v144, vcc_lo
	v_lshlrev_b64 v[149:150], 4, v[149:150]
	v_add_co_u32 v145, vcc_lo, v195, v145
	v_add_co_ci_u32_e32 v146, vcc_lo, v196, v146, vcc_lo
	v_lshlrev_b64 v[151:152], 4, v[151:152]
	v_add_co_u32 v147, vcc_lo, v195, v147
	v_add_co_ci_u32_e32 v148, vcc_lo, v196, v148, vcc_lo
	v_add_co_u32 v149, vcc_lo, v195, v149
	v_add_co_ci_u32_e32 v150, vcc_lo, v196, v150, vcc_lo
	v_add_nc_u32_e32 v193, 0x113, v142
	v_add_co_u32 v151, vcc_lo, v195, v151
	v_add_co_ci_u32_e32 v152, vcc_lo, v196, v152, vcc_lo
	v_add_co_u32 v154, vcc_lo, v195, v154
	v_mul_hi_u32 v194, 0x551c979b, v193
	v_add_co_ci_u32_e32 v155, vcc_lo, v196, v155, vcc_lo
	v_add_co_u32 v156, vcc_lo, v195, v156
	v_add_co_ci_u32_e32 v157, vcc_lo, v196, v157, vcc_lo
	v_add_co_u32 v158, vcc_lo, v195, v158
	;; [unrolled: 2-line block ×4, first 2 shown]
	v_add_co_ci_u32_e32 v163, vcc_lo, v196, v163, vcc_lo
	s_waitcnt vmcnt(13) lgkmcnt(7)
	v_mul_f64 v[164:165], v[108:109], v[50:51]
	s_waitcnt vmcnt(12) lgkmcnt(6)
	v_mul_f64 v[167:168], v[114:115], v[54:55]
	v_mul_f64 v[50:51], v[36:37], v[50:51]
	;; [unrolled: 1-line block ×3, first 2 shown]
	s_waitcnt vmcnt(7) lgkmcnt(2)
	v_mul_f64 v[185:186], v[130:131], v[66:67]
	s_waitcnt vmcnt(6)
	v_mul_f64 v[187:188], v[124:125], v[70:71]
	v_mul_f64 v[66:67], v[22:23], v[66:67]
	;; [unrolled: 1-line block ×11, first 2 shown]
	v_fma_f64 v[36:37], v[36:37], v[48:49], -v[164:165]
	s_waitcnt vmcnt(5) lgkmcnt(0)
	v_mul_f64 v[169:170], v[136:137], v[98:99]
	v_mul_f64 v[98:99], v[12:13], v[98:99]
	s_waitcnt vmcnt(4)
	v_mul_f64 v[173:174], v[110:111], v[102:103]
	v_mul_f64 v[102:103], v[38:39], v[102:103]
	v_fma_f64 v[34:35], v[34:35], v[52:53], -v[167:168]
	v_fma_f64 v[48:49], v[48:49], v[108:109], v[50:51]
	v_fma_f64 v[50:51], v[52:53], v[114:115], v[54:55]
	v_fma_f64 v[22:23], v[22:23], v[64:65], -v[185:186]
	v_fma_f64 v[24:25], v[24:25], v[68:69], -v[187:188]
	v_fma_f64 v[64:65], v[64:65], v[130:131], v[66:67]
	v_fma_f64 v[66:67], v[68:69], v[124:125], v[70:71]
	v_fma_f64 v[30:31], v[30:31], v[40:41], -v[177:178]
	v_fma_f64 v[32:33], v[32:33], v[44:45], -v[179:180]
	s_waitcnt vmcnt(3)
	v_mul_f64 v[189:190], v[128:129], v[90:91]
	s_waitcnt vmcnt(2)
	v_mul_f64 v[191:192], v[134:135], v[94:95]
	v_mul_f64 v[90:91], v[20:21], v[90:91]
	;; [unrolled: 1-line block ×3, first 2 shown]
	v_fma_f64 v[40:41], v[40:41], v[118:119], v[42:43]
	v_fma_f64 v[42:43], v[44:45], v[112:113], v[46:47]
	;; [unrolled: 1-line block ×4, first 2 shown]
	v_fma_f64 v[28:29], v[28:29], v[72:73], -v[181:182]
	v_fma_f64 v[12:13], v[12:13], v[96:97], -v[169:170]
	v_fma_f64 v[52:53], v[96:97], v[136:137], v[98:99]
	v_fma_f64 v[38:39], v[38:39], v[100:101], -v[173:174]
	v_fma_f64 v[54:55], v[100:101], v[110:111], v[102:103]
	v_add_f64 v[72:73], v[36:37], -v[34:35]
	v_add_f64 v[78:79], v[36:37], v[34:35]
	v_add_f64 v[36:37], v[104:105], v[36:37]
	s_waitcnt vmcnt(1)
	v_mul_f64 v[96:97], v[138:139], v[82:83]
	s_waitcnt vmcnt(0)
	v_mul_f64 v[98:99], v[132:133], v[86:87]
	v_mul_f64 v[82:83], v[14:15], v[82:83]
	v_mul_f64 v[86:87], v[16:17], v[86:87]
	v_fma_f64 v[26:27], v[26:27], v[76:77], -v[183:184]
	v_add_f64 v[76:77], v[48:49], v[106:107]
	v_fma_f64 v[20:21], v[20:21], v[88:89], -v[189:190]
	v_fma_f64 v[68:69], v[18:19], v[92:93], -v[191:192]
	v_fma_f64 v[18:19], v[88:89], v[128:129], v[90:91]
	v_fma_f64 v[70:71], v[92:93], v[134:135], v[94:95]
	v_add_f64 v[102:103], v[40:41], v[122:123]
	v_add_f64 v[110:111], v[40:41], -v[42:43]
	v_add_f64 v[114:115], v[44:45], v[120:121]
	v_add_f64 v[118:119], v[44:45], -v[46:47]
	v_add_f64 v[128:129], v[22:23], v[24:25]
	v_add_f64 v[100:101], v[4:5], v[12:13]
	;; [unrolled: 1-line block ×5, first 2 shown]
	v_add_f64 v[88:89], v[12:13], -v[38:39]
	v_add_f64 v[52:53], v[52:53], -v[54:55]
	v_add_f64 v[12:13], v[36:37], v[34:35]
	v_fma_f64 v[96:97], v[14:15], v[80:81], -v[96:97]
	v_fma_f64 v[98:99], v[16:17], v[84:85], -v[98:99]
	v_fma_f64 v[80:81], v[80:81], v[138:139], v[82:83]
	v_fma_f64 v[82:83], v[84:85], v[132:133], v[86:87]
	v_add_f64 v[86:87], v[40:41], v[42:43]
	v_add_f64 v[40:41], v[44:45], v[46:47]
	;; [unrolled: 1-line block ×6, first 2 shown]
	v_add_f64 v[167:168], v[18:19], -v[70:71]
	v_add_f64 v[74:75], v[48:49], v[50:51]
	v_add_f64 v[48:49], v[48:49], -v[50:51]
	v_add_f64 v[108:109], v[30:31], v[32:33]
	v_add_f64 v[14:15], v[50:51], v[76:77]
	v_fma_f64 v[50:51], v[78:79], -0.5, v[104:105]
	v_add_f64 v[18:19], v[92:93], v[54:55]
	v_fma_f64 v[54:55], v[94:95], -0.5, v[4:5]
	v_fma_f64 v[36:37], v[90:91], -0.5, v[60:61]
	v_add_f64 v[84:85], v[30:31], -v[32:33]
	v_add_f64 v[30:31], v[10:11], v[30:31]
	v_add_f64 v[112:113], v[28:29], -v[26:27]
	v_add_f64 v[116:117], v[28:29], v[26:27]
	v_add_f64 v[169:170], v[96:97], v[98:99]
	;; [unrolled: 1-line block ×4, first 2 shown]
	v_add_f64 v[78:79], v[80:81], -v[82:83]
	v_add_f64 v[80:81], v[6:7], v[96:97]
	v_add_f64 v[60:61], v[96:97], -v[98:99]
	v_add_f64 v[28:29], v[8:9], v[28:29]
	v_add_f64 v[126:127], v[64:65], v[58:59]
	v_add_f64 v[130:131], v[64:65], -v[66:67]
	v_add_f64 v[64:65], v[2:3], v[22:23]
	v_add_f64 v[173:174], v[0:1], v[20:21]
	v_add_f64 v[132:133], v[20:21], -v[68:69]
	v_fma_f64 v[96:97], v[134:135], -0.5, v[56:57]
	v_fma_f64 v[0:1], v[138:139], -0.5, v[0:1]
	v_add_f64 v[124:125], v[22:23], -v[24:25]
	v_add_f64 v[16:17], v[100:101], v[38:39]
	v_add_f64 v[22:23], v[42:43], v[102:103]
	v_fma_f64 v[100:101], v[44:45], -0.5, v[58:59]
	v_fma_f64 v[102:103], v[128:129], -0.5, v[2:3]
	;; [unrolled: 1-line block ×3, first 2 shown]
	v_fma_f64 v[42:43], v[88:89], s[4:5], v[36:37]
	v_fma_f64 v[40:41], v[52:53], s[0:1], v[54:55]
	v_fma_f64 v[6:7], v[169:170], -0.5, v[6:7]
	v_fma_f64 v[38:39], v[88:89], s[0:1], v[36:37]
	v_fma_f64 v[62:63], v[164:165], -0.5, v[62:63]
	;; [unrolled: 2-line block ×3, first 2 shown]
	v_add_f64 v[10:11], v[46:47], v[114:115]
	v_add_f64 v[46:47], v[82:83], v[76:77]
	;; [unrolled: 1-line block ×4, first 2 shown]
	v_fma_f64 v[94:95], v[116:117], -0.5, v[8:9]
	v_add_f64 v[8:9], v[28:29], v[26:27]
	v_fma_f64 v[28:29], v[48:49], s[4:5], v[50:51]
	v_fma_f64 v[32:33], v[48:49], s[0:1], v[50:51]
	v_add_f64 v[2:3], v[64:65], v[24:25]
	v_add_f64 v[26:27], v[70:71], v[136:137]
	v_add_f64 v[24:25], v[173:174], v[68:69]
	v_fma_f64 v[58:59], v[132:133], s[4:5], v[96:97]
	v_fma_f64 v[56:57], v[167:168], s[0:1], v[0:1]
	v_add_f64 v[4:5], v[66:67], v[126:127]
	v_fma_f64 v[66:67], v[124:125], s[4:5], v[100:101]
	v_fma_f64 v[64:65], v[130:131], s[0:1], v[102:103]
	global_store_dwordx4 v[140:141], v[16:19], off
	v_fma_f64 v[52:53], v[78:79], s[0:1], v[6:7]
	v_fma_f64 v[48:49], v[78:79], s[4:5], v[6:7]
	;; [unrolled: 1-line block ×6, first 2 shown]
	global_store_dwordx4 v[143:144], v[40:43], off
	global_store_dwordx4 v[145:146], v[36:39], off
	;; [unrolled: 1-line block ×7, first 2 shown]
	v_lshrrev_b32_e32 v24, 7, v194
	v_add_nc_u32_e32 v25, 0x181, v197
	v_add_nc_u32_e32 v26, 0x302, v197
	v_fma_f64 v[82:83], v[124:125], s[0:1], v[100:101]
	v_fma_f64 v[80:81], v[130:131], s[4:5], v[102:103]
	v_mul_u32_u24_e32 v6, 0x181, v24
	global_store_dwordx4 v[160:161], v[60:63], off
	global_store_dwordx4 v[151:152], v[2:5], off
	;; [unrolled: 1-line block ×3, first 2 shown]
	v_mad_u64_u32 v[2:3], null, s2, v25, 0
	v_mad_u64_u32 v[4:5], null, s2, v26, 0
	v_mov_b32_e32 v154, v172
	v_mov_b32_e32 v167, v176
	v_sub_nc_u32_e32 v27, v193, v6
	v_fma_f64 v[74:75], v[74:75], -0.5, v[106:107]
	v_add_nc_u32_e32 v37, 0x14a, v142
	v_lshlrev_b64 v[6:7], 4, v[153:154]
	v_lshlrev_b64 v[0:1], 4, v[166:167]
	v_mad_u32_u24 v36, 0x483, v24, v27
	v_mad_u64_u32 v[24:25], null, s3, v25, v[3:4]
	v_fma_f64 v[78:79], v[112:113], s[4:5], v[92:93]
	v_mad_u64_u32 v[25:26], null, s3, v26, v[5:6]
	v_add_co_u32 v0, vcc_lo, v195, v0
	v_mad_u64_u32 v[26:27], null, s2, v36, 0
	v_add_co_ci_u32_e32 v1, vcc_lo, v196, v1, vcc_lo
	v_mov_b32_e32 v3, v24
	v_add_co_u32 v6, vcc_lo, v195, v6
	v_mul_hi_u32 v24, 0x551c979b, v37
	global_store_dwordx4 v[0:1], v[80:83], off
	v_lshlrev_b64 v[1:2], 4, v[2:3]
	v_add_co_ci_u32_e32 v7, vcc_lo, v196, v7, vcc_lo
	v_mov_b32_e32 v5, v25
	v_mov_b32_e32 v0, v27
	v_fma_f64 v[30:31], v[72:73], s[0:1], v[74:75]
	v_fma_f64 v[34:35], v[72:73], s[4:5], v[74:75]
	;; [unrolled: 1-line block ×5, first 2 shown]
	global_store_dwordx4 v[6:7], v[8:11], off
	v_lshlrev_b64 v[3:4], 4, v[4:5]
	v_mad_u64_u32 v[5:6], null, s3, v36, v[0:1]
	v_lshrrev_b32_e32 v6, 7, v24
	v_add_co_u32 v0, vcc_lo, v195, v1
	v_add_co_ci_u32_e32 v1, vcc_lo, v196, v2, vcc_lo
	v_mul_u32_u24_e32 v7, 0x181, v6
	v_add_co_u32 v2, vcc_lo, v195, v3
	v_add_nc_u32_e32 v8, 0x181, v36
	v_add_co_ci_u32_e32 v3, vcc_lo, v196, v4, vcc_lo
	v_sub_nc_u32_e32 v7, v37, v7
	v_add_nc_u32_e32 v10, 0x302, v36
	v_mov_b32_e32 v27, v5
	v_mad_u64_u32 v[4:5], null, s2, v8, 0
	v_mad_u32_u24 v24, 0x483, v6, v7
	global_store_dwordx4 v[0:1], v[76:79], off
	global_store_dwordx4 v[2:3], v[72:75], off
	v_mad_u64_u32 v[2:3], null, s2, v10, 0
	v_mad_u64_u32 v[6:7], null, s2, v24, 0
	v_lshlrev_b64 v[0:1], 4, v[26:27]
	v_add_nc_u32_e32 v27, 0x181, v24
	v_fma_f64 v[86:87], v[86:87], -0.5, v[122:123]
	v_add_nc_u32_e32 v36, 0x302, v24
	v_fma_f64 v[68:69], v[110:111], s[0:1], v[90:91]
	v_fma_f64 v[16:17], v[110:111], s[4:5], v[90:91]
	v_mad_u64_u32 v[8:9], null, s3, v8, v[5:6]
	v_mad_u64_u32 v[9:10], null, s3, v10, v[3:4]
	v_mov_b32_e32 v3, v7
	v_mad_u64_u32 v[10:11], null, s2, v27, 0
	v_add_co_u32 v0, vcc_lo, v195, v0
	v_add_co_ci_u32_e32 v1, vcc_lo, v196, v1, vcc_lo
	v_mad_u64_u32 v[24:25], null, s3, v24, v[3:4]
	v_mad_u64_u32 v[25:26], null, s2, v36, 0
	global_store_dwordx4 v[0:1], v[20:23], off
	v_mov_b32_e32 v0, v11
	v_mov_b32_e32 v3, v9
	;; [unrolled: 1-line block ×3, first 2 shown]
	v_fma_f64 v[70:71], v[84:85], s[4:5], v[86:87]
	v_fma_f64 v[18:19], v[84:85], s[0:1], v[86:87]
	v_mad_u64_u32 v[0:1], null, s3, v27, v[0:1]
	v_lshlrev_b64 v[2:3], 4, v[2:3]
	v_mov_b32_e32 v1, v26
	v_lshlrev_b64 v[4:5], 4, v[4:5]
	v_mov_b32_e32 v7, v24
	v_mad_u64_u32 v[8:9], null, s3, v36, v[1:2]
	v_add_co_u32 v4, vcc_lo, v195, v4
	v_mov_b32_e32 v11, v0
	v_add_co_ci_u32_e32 v5, vcc_lo, v196, v5, vcc_lo
	v_lshlrev_b64 v[6:7], 4, v[6:7]
	v_add_co_u32 v0, vcc_lo, v195, v2
	v_mov_b32_e32 v26, v8
	v_add_co_ci_u32_e32 v1, vcc_lo, v196, v3, vcc_lo
	v_lshlrev_b64 v[2:3], 4, v[10:11]
	v_add_co_u32 v6, vcc_lo, v195, v6
	v_lshlrev_b64 v[8:9], 4, v[25:26]
	v_add_co_ci_u32_e32 v7, vcc_lo, v196, v7, vcc_lo
	v_add_co_u32 v2, vcc_lo, v195, v2
	v_add_co_ci_u32_e32 v3, vcc_lo, v196, v3, vcc_lo
	v_add_co_u32 v8, vcc_lo, v195, v8
	v_add_co_ci_u32_e32 v9, vcc_lo, v196, v9, vcc_lo
	global_store_dwordx4 v[4:5], v[68:71], off
	global_store_dwordx4 v[0:1], v[16:19], off
	;; [unrolled: 1-line block ×5, first 2 shown]
.LBB0_29:
	s_endpgm
	.section	.rodata,"a",@progbits
	.p2align	6, 0x0
	.amdhsa_kernel fft_rtc_fwd_len1155_factors_11_5_7_3_wgs_55_tpt_55_halfLds_dp_op_CI_CI_sbrr_dirReg
		.amdhsa_group_segment_fixed_size 0
		.amdhsa_private_segment_fixed_size 0
		.amdhsa_kernarg_size 104
		.amdhsa_user_sgpr_count 6
		.amdhsa_user_sgpr_private_segment_buffer 1
		.amdhsa_user_sgpr_dispatch_ptr 0
		.amdhsa_user_sgpr_queue_ptr 0
		.amdhsa_user_sgpr_kernarg_segment_ptr 1
		.amdhsa_user_sgpr_dispatch_id 0
		.amdhsa_user_sgpr_flat_scratch_init 0
		.amdhsa_user_sgpr_private_segment_size 0
		.amdhsa_wavefront_size32 1
		.amdhsa_uses_dynamic_stack 0
		.amdhsa_system_sgpr_private_segment_wavefront_offset 0
		.amdhsa_system_sgpr_workgroup_id_x 1
		.amdhsa_system_sgpr_workgroup_id_y 0
		.amdhsa_system_sgpr_workgroup_id_z 0
		.amdhsa_system_sgpr_workgroup_info 0
		.amdhsa_system_vgpr_workitem_id 0
		.amdhsa_next_free_vgpr 241
		.amdhsa_next_free_sgpr 40
		.amdhsa_reserve_vcc 1
		.amdhsa_reserve_flat_scratch 0
		.amdhsa_float_round_mode_32 0
		.amdhsa_float_round_mode_16_64 0
		.amdhsa_float_denorm_mode_32 3
		.amdhsa_float_denorm_mode_16_64 3
		.amdhsa_dx10_clamp 1
		.amdhsa_ieee_mode 1
		.amdhsa_fp16_overflow 0
		.amdhsa_workgroup_processor_mode 1
		.amdhsa_memory_ordered 1
		.amdhsa_forward_progress 0
		.amdhsa_shared_vgpr_count 0
		.amdhsa_exception_fp_ieee_invalid_op 0
		.amdhsa_exception_fp_denorm_src 0
		.amdhsa_exception_fp_ieee_div_zero 0
		.amdhsa_exception_fp_ieee_overflow 0
		.amdhsa_exception_fp_ieee_underflow 0
		.amdhsa_exception_fp_ieee_inexact 0
		.amdhsa_exception_int_div_zero 0
	.end_amdhsa_kernel
	.text
.Lfunc_end0:
	.size	fft_rtc_fwd_len1155_factors_11_5_7_3_wgs_55_tpt_55_halfLds_dp_op_CI_CI_sbrr_dirReg, .Lfunc_end0-fft_rtc_fwd_len1155_factors_11_5_7_3_wgs_55_tpt_55_halfLds_dp_op_CI_CI_sbrr_dirReg
                                        ; -- End function
	.section	.AMDGPU.csdata,"",@progbits
; Kernel info:
; codeLenInByte = 19768
; NumSgprs: 42
; NumVgprs: 241
; ScratchSize: 0
; MemoryBound: 1
; FloatMode: 240
; IeeeMode: 1
; LDSByteSize: 0 bytes/workgroup (compile time only)
; SGPRBlocks: 5
; VGPRBlocks: 30
; NumSGPRsForWavesPerEU: 42
; NumVGPRsForWavesPerEU: 241
; Occupancy: 4
; WaveLimiterHint : 1
; COMPUTE_PGM_RSRC2:SCRATCH_EN: 0
; COMPUTE_PGM_RSRC2:USER_SGPR: 6
; COMPUTE_PGM_RSRC2:TRAP_HANDLER: 0
; COMPUTE_PGM_RSRC2:TGID_X_EN: 1
; COMPUTE_PGM_RSRC2:TGID_Y_EN: 0
; COMPUTE_PGM_RSRC2:TGID_Z_EN: 0
; COMPUTE_PGM_RSRC2:TIDIG_COMP_CNT: 0
	.text
	.p2alignl 6, 3214868480
	.fill 48, 4, 3214868480
	.type	__hip_cuid_b1508ceb90a941c1,@object ; @__hip_cuid_b1508ceb90a941c1
	.section	.bss,"aw",@nobits
	.globl	__hip_cuid_b1508ceb90a941c1
__hip_cuid_b1508ceb90a941c1:
	.byte	0                               ; 0x0
	.size	__hip_cuid_b1508ceb90a941c1, 1

	.ident	"AMD clang version 19.0.0git (https://github.com/RadeonOpenCompute/llvm-project roc-6.4.0 25133 c7fe45cf4b819c5991fe208aaa96edf142730f1d)"
	.section	".note.GNU-stack","",@progbits
	.addrsig
	.addrsig_sym __hip_cuid_b1508ceb90a941c1
	.amdgpu_metadata
---
amdhsa.kernels:
  - .args:
      - .actual_access:  read_only
        .address_space:  global
        .offset:         0
        .size:           8
        .value_kind:     global_buffer
      - .offset:         8
        .size:           8
        .value_kind:     by_value
      - .actual_access:  read_only
        .address_space:  global
        .offset:         16
        .size:           8
        .value_kind:     global_buffer
      - .actual_access:  read_only
        .address_space:  global
        .offset:         24
        .size:           8
        .value_kind:     global_buffer
      - .actual_access:  read_only
        .address_space:  global
        .offset:         32
        .size:           8
        .value_kind:     global_buffer
      - .offset:         40
        .size:           8
        .value_kind:     by_value
      - .actual_access:  read_only
        .address_space:  global
        .offset:         48
        .size:           8
        .value_kind:     global_buffer
      - .actual_access:  read_only
        .address_space:  global
        .offset:         56
        .size:           8
        .value_kind:     global_buffer
      - .offset:         64
        .size:           4
        .value_kind:     by_value
      - .actual_access:  read_only
        .address_space:  global
        .offset:         72
        .size:           8
        .value_kind:     global_buffer
      - .actual_access:  read_only
        .address_space:  global
        .offset:         80
        .size:           8
        .value_kind:     global_buffer
      - .actual_access:  read_only
        .address_space:  global
        .offset:         88
        .size:           8
        .value_kind:     global_buffer
      - .actual_access:  write_only
        .address_space:  global
        .offset:         96
        .size:           8
        .value_kind:     global_buffer
    .group_segment_fixed_size: 0
    .kernarg_segment_align: 8
    .kernarg_segment_size: 104
    .language:       OpenCL C
    .language_version:
      - 2
      - 0
    .max_flat_workgroup_size: 55
    .name:           fft_rtc_fwd_len1155_factors_11_5_7_3_wgs_55_tpt_55_halfLds_dp_op_CI_CI_sbrr_dirReg
    .private_segment_fixed_size: 0
    .sgpr_count:     42
    .sgpr_spill_count: 0
    .symbol:         fft_rtc_fwd_len1155_factors_11_5_7_3_wgs_55_tpt_55_halfLds_dp_op_CI_CI_sbrr_dirReg.kd
    .uniform_work_group_size: 1
    .uses_dynamic_stack: false
    .vgpr_count:     241
    .vgpr_spill_count: 0
    .wavefront_size: 32
    .workgroup_processor_mode: 1
amdhsa.target:   amdgcn-amd-amdhsa--gfx1030
amdhsa.version:
  - 1
  - 2
...

	.end_amdgpu_metadata
